;; amdgpu-corpus repo=ROCm/rocFFT kind=compiled arch=gfx906 opt=O3
	.text
	.amdgcn_target "amdgcn-amd-amdhsa--gfx906"
	.amdhsa_code_object_version 6
	.protected	bluestein_single_back_len1694_dim1_half_op_CI_CI ; -- Begin function bluestein_single_back_len1694_dim1_half_op_CI_CI
	.globl	bluestein_single_back_len1694_dim1_half_op_CI_CI
	.p2align	8
	.type	bluestein_single_back_len1694_dim1_half_op_CI_CI,@function
bluestein_single_back_len1694_dim1_half_op_CI_CI: ; @bluestein_single_back_len1694_dim1_half_op_CI_CI
; %bb.0:
	s_load_dwordx4 s[16:19], s[4:5], 0x28
	v_mul_u32_u24_e32 v1, 0x1aa, v0
	v_add_u32_sdwa v16, s6, v1 dst_sel:DWORD dst_unused:UNUSED_PAD src0_sel:DWORD src1_sel:WORD_1
	v_mov_b32_e32 v17, 0
	s_waitcnt lgkmcnt(0)
	v_cmp_gt_u64_e32 vcc, s[16:17], v[16:17]
	s_and_saveexec_b64 s[0:1], vcc
	s_cbranch_execz .LBB0_18
; %bb.1:
	s_load_dwordx4 s[0:3], s[4:5], 0x18
	s_load_dwordx4 s[12:15], s[4:5], 0x0
	s_mov_b32 s20, 0xb853
	s_mov_b32 s17, 0xb93d
	;; [unrolled: 1-line block ×3, first 2 shown]
	s_waitcnt lgkmcnt(0)
	s_load_dwordx4 s[8:11], s[0:1], 0x0
	s_movk_i32 s0, 0x9a
	v_mul_lo_u16_sdwa v1, v1, s0 dst_sel:DWORD dst_unused:UNUSED_PAD src0_sel:WORD_1 src1_sel:DWORD
	v_sub_u16_e32 v45, v0, v1
	v_lshlrev_b32_e32 v35, 2, v45
	s_waitcnt lgkmcnt(0)
	v_mad_u64_u32 v[0:1], s[0:1], s10, v16, 0
	v_mad_u64_u32 v[2:3], s[0:1], s8, v45, 0
	s_mul_i32 s6, s9, 0x268
	s_mul_hi_u32 s7, s8, 0x268
	v_mad_u64_u32 v[4:5], s[0:1], s11, v16, v[1:2]
	s_add_i32 s6, s7, s6
	s_mul_i32 s7, s8, 0x268
	v_mad_u64_u32 v[5:6], s[0:1], s9, v45, v[3:4]
	v_mov_b32_e32 v1, v4
	v_lshlrev_b64 v[0:1], 2, v[0:1]
	v_mov_b32_e32 v6, s19
	v_mov_b32_e32 v3, v5
	v_add_co_u32_e32 v4, vcc, s18, v0
	v_addc_co_u32_e32 v5, vcc, v6, v1, vcc
	v_lshlrev_b64 v[0:1], 2, v[2:3]
	v_mov_b32_e32 v2, s13
	v_add_co_u32_e32 v0, vcc, v4, v0
	v_add_co_u32_e64 v48, s[0:1], s12, v35
	v_addc_co_u32_e32 v1, vcc, v5, v1, vcc
	v_addc_co_u32_e64 v4, vcc, 0, v2, s[0:1]
	v_mov_b32_e32 v3, s6
	v_add_co_u32_e32 v2, vcc, s7, v0
	v_addc_co_u32_e32 v3, vcc, v1, v3, vcc
	global_load_dword v5, v[0:1], off
	global_load_dword v6, v[2:3], off
	global_load_dword v47, v35, s[12:13]
	global_load_dword v46, v35, s[12:13] offset:616
	v_mov_b32_e32 v1, s6
	v_add_co_u32_e32 v0, vcc, s7, v2
	v_addc_co_u32_e32 v1, vcc, v3, v1, vcc
	v_mov_b32_e32 v3, s6
	v_add_co_u32_e32 v2, vcc, s7, v0
	v_addc_co_u32_e32 v3, vcc, v1, v3, vcc
	global_load_dword v7, v[0:1], off
	global_load_dword v8, v[2:3], off
	global_load_dword v44, v35, s[12:13] offset:1232
	global_load_dword v43, v35, s[12:13] offset:1848
	v_mov_b32_e32 v1, s6
	v_add_co_u32_e32 v0, vcc, s7, v2
	v_addc_co_u32_e32 v1, vcc, v3, v1, vcc
	global_load_dword v9, v[0:1], off
	global_load_dword v42, v35, s[12:13] offset:2464
	v_mov_b32_e32 v2, s6
	v_add_co_u32_e32 v0, vcc, s7, v0
	v_addc_co_u32_e32 v1, vcc, v1, v2, vcc
	global_load_dword v10, v[0:1], off
	v_add_co_u32_e32 v0, vcc, s7, v0
	v_addc_co_u32_e32 v1, vcc, v1, v2, vcc
	global_load_dword v41, v35, s[12:13] offset:3080
	global_load_dword v11, v[0:1], off
	global_load_dword v40, v35, s[12:13] offset:3696
	v_add_co_u32_e32 v0, vcc, s7, v0
	v_addc_co_u32_e32 v1, vcc, v1, v2, vcc
	s_movk_i32 s8, 0x1000
	v_add_co_u32_e32 v2, vcc, s8, v48
	global_load_dword v12, v[0:1], off
	v_addc_co_u32_e32 v3, vcc, 0, v4, vcc
	global_load_dword v39, v[2:3], off offset:216
	v_mov_b32_e32 v4, s6
	v_add_co_u32_e32 v0, vcc, s7, v0
	v_addc_co_u32_e32 v1, vcc, v1, v4, vcc
	global_load_dword v13, v[0:1], off
	global_load_dword v38, v[2:3], off offset:832
	v_add_co_u32_e32 v0, vcc, s7, v0
	v_addc_co_u32_e32 v1, vcc, v1, v4, vcc
	global_load_dword v14, v[0:1], off
	global_load_dword v37, v[2:3], off offset:1448
	v_add_co_u32_e32 v0, vcc, s7, v0
	v_addc_co_u32_e32 v1, vcc, v1, v4, vcc
	global_load_dword v15, v[0:1], off
	global_load_dword v36, v[2:3], off offset:2064
	s_load_dwordx2 s[6:7], s[4:5], 0x38
	s_load_dwordx4 s[8:11], s[2:3], 0x0
	v_add_u32_e32 v4, 0x400, v35
	s_movk_i32 s5, 0x36a6
	s_mov_b32 s12, 0xb08e
	s_movk_i32 s4, 0x3abb
	s_mov_b32 s18, 0xbb47
	s_mov_b32 s2, 0x3abb36a6
	;; [unrolled: 1-line block ×3, first 2 shown]
	s_movk_i32 s19, 0x3beb
	s_mov_b32 s21, 0xb93db08e
	s_waitcnt vmcnt(21)
	v_lshrrev_b32_e32 v0, 16, v5
	s_waitcnt vmcnt(19)
	v_mul_f16_sdwa v1, v47, v0 dst_sel:DWORD dst_unused:UNUSED_PAD src0_sel:WORD_1 src1_sel:DWORD
	v_mul_f16_sdwa v2, v47, v5 dst_sel:DWORD dst_unused:UNUSED_PAD src0_sel:WORD_1 src1_sel:DWORD
	v_fma_f16 v1, v47, v5, v1
	v_fma_f16 v0, v47, v0, -v2
	v_pack_b32_f16 v0, v1, v0
	v_lshrrev_b32_e32 v1, 16, v6
	s_waitcnt vmcnt(18)
	v_mul_f16_sdwa v2, v46, v1 dst_sel:DWORD dst_unused:UNUSED_PAD src0_sel:WORD_1 src1_sel:DWORD
	v_mul_f16_sdwa v3, v46, v6 dst_sel:DWORD dst_unused:UNUSED_PAD src0_sel:WORD_1 src1_sel:DWORD
	v_fma_f16 v2, v46, v6, v2
	v_fma_f16 v1, v46, v1, -v3
	v_pack_b32_f16 v1, v2, v1
	ds_write2_b32 v35, v0, v1 offset1:154
	s_waitcnt vmcnt(17)
	v_lshrrev_b32_e32 v0, 16, v7
	s_waitcnt vmcnt(15)
	v_mul_f16_sdwa v1, v44, v0 dst_sel:DWORD dst_unused:UNUSED_PAD src0_sel:WORD_1 src1_sel:DWORD
	v_mul_f16_sdwa v2, v44, v7 dst_sel:DWORD dst_unused:UNUSED_PAD src0_sel:WORD_1 src1_sel:DWORD
	v_fma_f16 v1, v44, v7, v1
	v_fma_f16 v0, v44, v0, -v2
	v_pack_b32_f16 v0, v1, v0
	v_lshrrev_b32_e32 v1, 16, v8
	s_waitcnt vmcnt(14)
	v_mul_f16_sdwa v2, v43, v1 dst_sel:DWORD dst_unused:UNUSED_PAD src0_sel:WORD_1 src1_sel:DWORD
	v_mul_f16_sdwa v3, v43, v8 dst_sel:DWORD dst_unused:UNUSED_PAD src0_sel:WORD_1 src1_sel:DWORD
	v_fma_f16 v2, v43, v8, v2
	v_fma_f16 v1, v43, v1, -v3
	v_pack_b32_f16 v1, v2, v1
	ds_write2_b32 v4, v0, v1 offset0:52 offset1:206
	s_waitcnt vmcnt(13)
	v_lshrrev_b32_e32 v0, 16, v9
	s_waitcnt vmcnt(12)
	v_mul_f16_sdwa v1, v42, v0 dst_sel:DWORD dst_unused:UNUSED_PAD src0_sel:WORD_1 src1_sel:DWORD
	v_mul_f16_sdwa v2, v42, v9 dst_sel:DWORD dst_unused:UNUSED_PAD src0_sel:WORD_1 src1_sel:DWORD
	v_fma_f16 v1, v42, v9, v1
	v_fma_f16 v0, v42, v0, -v2
	v_pack_b32_f16 v0, v1, v0
	s_waitcnt vmcnt(11)
	v_lshrrev_b32_e32 v1, 16, v10
	s_waitcnt vmcnt(10)
	v_mul_f16_sdwa v2, v41, v1 dst_sel:DWORD dst_unused:UNUSED_PAD src0_sel:WORD_1 src1_sel:DWORD
	v_mul_f16_sdwa v3, v41, v10 dst_sel:DWORD dst_unused:UNUSED_PAD src0_sel:WORD_1 src1_sel:DWORD
	v_fma_f16 v2, v41, v10, v2
	v_fma_f16 v1, v41, v1, -v3
	v_pack_b32_f16 v1, v2, v1
	v_add_u32_e32 v2, 0x900, v35
	ds_write2_b32 v2, v0, v1 offset0:40 offset1:194
	s_waitcnt vmcnt(9)
	v_lshrrev_b32_e32 v0, 16, v11
	s_waitcnt vmcnt(8)
	v_mul_f16_sdwa v1, v40, v0 dst_sel:DWORD dst_unused:UNUSED_PAD src0_sel:WORD_1 src1_sel:DWORD
	v_mul_f16_sdwa v3, v40, v11 dst_sel:DWORD dst_unused:UNUSED_PAD src0_sel:WORD_1 src1_sel:DWORD
	v_fma_f16 v1, v40, v11, v1
	v_fma_f16 v0, v40, v0, -v3
	v_pack_b32_f16 v0, v1, v0
	s_waitcnt vmcnt(7)
	v_lshrrev_b32_e32 v1, 16, v12
	s_waitcnt vmcnt(6)
	v_mul_f16_sdwa v3, v39, v1 dst_sel:DWORD dst_unused:UNUSED_PAD src0_sel:WORD_1 src1_sel:DWORD
	v_mul_f16_sdwa v5, v39, v12 dst_sel:DWORD dst_unused:UNUSED_PAD src0_sel:WORD_1 src1_sel:DWORD
	v_fma_f16 v3, v39, v12, v3
	v_fma_f16 v1, v39, v1, -v5
	v_pack_b32_f16 v1, v3, v1
	v_add_u32_e32 v3, 0xe00, v35
	ds_write2_b32 v3, v0, v1 offset0:28 offset1:182
	s_waitcnt vmcnt(5)
	v_lshrrev_b32_e32 v0, 16, v13
	s_waitcnt vmcnt(4)
	v_mul_f16_sdwa v1, v38, v0 dst_sel:DWORD dst_unused:UNUSED_PAD src0_sel:WORD_1 src1_sel:DWORD
	v_mul_f16_sdwa v5, v38, v13 dst_sel:DWORD dst_unused:UNUSED_PAD src0_sel:WORD_1 src1_sel:DWORD
	v_fma_f16 v1, v38, v13, v1
	v_fma_f16 v0, v38, v0, -v5
	v_pack_b32_f16 v0, v1, v0
	s_waitcnt vmcnt(3)
	v_lshrrev_b32_e32 v1, 16, v14
	s_waitcnt vmcnt(2)
	v_mul_f16_sdwa v5, v37, v1 dst_sel:DWORD dst_unused:UNUSED_PAD src0_sel:WORD_1 src1_sel:DWORD
	v_mul_f16_sdwa v6, v37, v14 dst_sel:DWORD dst_unused:UNUSED_PAD src0_sel:WORD_1 src1_sel:DWORD
	v_fma_f16 v5, v37, v14, v5
	v_fma_f16 v1, v37, v1, -v6
	v_pack_b32_f16 v1, v5, v1
	v_add_u32_e32 v5, 0x1200, v35
	ds_write2_b32 v5, v0, v1 offset0:80 offset1:234
	s_waitcnt vmcnt(1)
	v_lshrrev_b32_e32 v0, 16, v15
	s_waitcnt vmcnt(0)
	v_mul_f16_sdwa v1, v36, v0 dst_sel:DWORD dst_unused:UNUSED_PAD src0_sel:WORD_1 src1_sel:DWORD
	v_mul_f16_sdwa v6, v36, v15 dst_sel:DWORD dst_unused:UNUSED_PAD src0_sel:WORD_1 src1_sel:DWORD
	v_fma_f16 v1, v36, v15, v1
	v_fma_f16 v0, v36, v0, -v6
	v_pack_b32_f16 v0, v1, v0
	ds_write_b32 v35, v0 offset:6160
	v_mul_lo_u16_e32 v0, 11, v45
	s_waitcnt lgkmcnt(0)
	s_barrier
	v_lshlrev_b32_e32 v49, 2, v0
	ds_read2_b32 v[0:1], v35 offset1:154
	ds_read2_b32 v[6:7], v4 offset0:52 offset1:206
	ds_read2_b32 v[8:9], v2 offset0:40 offset1:194
	;; [unrolled: 1-line block ×4, first 2 shown]
	ds_read_b32 v3, v35 offset:6160
	s_waitcnt lgkmcnt(5)
	v_pk_add_f16 v2, v0, v1
	s_waitcnt lgkmcnt(4)
	v_pk_add_f16 v2, v2, v6
	v_pk_add_f16 v2, v2, v7
	s_waitcnt lgkmcnt(3)
	v_pk_add_f16 v2, v2, v8
	;; [unrolled: 3-line block ×5, first 2 shown]
	v_pk_add_f16 v5, v3, v1
	v_pk_add_f16 v3, v1, v3 neg_lo:[0,1] neg_hi:[0,1]
	v_lshrrev_b32_e32 v20, 16, v5
	v_mul_f16_e32 v21, 0xbb47, v3
	v_mul_f16_e32 v25, 0xbbeb, v3
	;; [unrolled: 1-line block ×3, first 2 shown]
	v_mul_f16_sdwa v1, v3, s20 dst_sel:DWORD dst_unused:UNUSED_PAD src0_sel:WORD_1 src1_sel:DWORD
	v_fma_f16 v22, v20, s5, v21
	v_fma_f16 v21, v20, s5, -v21
	v_fma_f16 v26, v20, s12, v25
	v_fma_f16 v25, v20, s12, -v25
	;; [unrolled: 2-line block ×3, first 2 shown]
	v_pk_add_f16 v29, v13, v6
	v_pk_add_f16 v6, v6, v13 neg_lo:[0,1] neg_hi:[0,1]
	v_fma_f16 v14, v5, s4, -v1
	v_fma_f16 v1, v5, s4, v1
	v_mul_f16_sdwa v13, v6, s18 dst_sel:DWORD dst_unused:UNUSED_PAD src0_sel:WORD_1 src1_sel:DWORD
	v_add_f16_e32 v15, v0, v1
	v_pk_mul_f16 v17, v5, s2
	s_mov_b32 s2, 0xbb47b853
	v_fma_f16 v31, v29, s5, -v13
	v_fma_f16 v13, v29, s5, v13
	s_mov_b32 s18, 0x36a6b93d
	v_add_f16_e32 v14, v0, v14
	v_pk_fma_f16 v18, v3, s2, v17 op_sel:[0,0,1] op_sel_hi:[1,1,0] neg_lo:[1,0,0] neg_hi:[1,0,0]
	v_pk_fma_f16 v17, v3, s2, v17 op_sel:[0,0,1] op_sel_hi:[1,1,0]
	s_mov_b32 s2, 0xffff
	v_add_f16_e32 v13, v13, v15
	v_pk_mul_f16 v15, v29, s18
	s_mov_b32 s18, 0xba0cbb47
	v_bfi_b32 v19, s2, v17, v18
	v_add_f16_e32 v14, v31, v14
	v_pk_fma_f16 v31, v6, s18, v15 op_sel:[0,0,1] op_sel_hi:[1,1,0] neg_lo:[1,0,0] neg_hi:[1,0,0]
	v_pk_fma_f16 v15, v6, s18, v15 op_sel:[0,0,1] op_sel_hi:[1,1,0]
	v_pk_add_f16 v19, v0, v19 op_sel:[1,0] op_sel_hi:[0,1]
	v_alignbit_b32 v17, s0, v17, 16
	v_bfi_b32 v32, s2, v15, v31
	v_pk_add_f16 v17, v0, v17
	v_pk_add_f16 v19, v32, v19
	v_lshrrev_b32_e32 v32, 16, v29
	v_mul_f16_e32 v33, 0xba0c, v6
	v_alignbit_b32 v15, s0, v15, 16
	v_add_f16_sdwa v21, v0, v21 dst_sel:DWORD dst_unused:UNUSED_PAD src0_sel:WORD_1 src1_sel:DWORD
	v_mul_f16_sdwa v23, v3, s3 dst_sel:DWORD dst_unused:UNUSED_PAD src0_sel:WORD_1 src1_sel:DWORD
	v_pk_add_f16 v15, v15, v17
	v_fma_f16 v17, v32, s17, -v33
	s_movk_i32 s18, 0x3482
	v_fma_f16 v24, v5, s12, -v23
	v_add_f16_e32 v17, v17, v21
	v_mul_f16_sdwa v21, v6, s18 dst_sel:DWORD dst_unused:UNUSED_PAD src0_sel:WORD_1 src1_sel:DWORD
	s_mov_b32 s18, 0xbbad
	v_add_f16_e32 v24, v0, v24
	v_fma_f16 v23, v5, s12, v23
	v_fma_f16 v34, v32, s17, v33
	v_fma_f16 v33, v29, s18, -v21
	v_add_f16_e32 v23, v0, v23
	v_add_f16_e32 v24, v33, v24
	v_mul_f16_e32 v33, 0x3482, v6
	v_fma_f16 v21, v29, s18, v21
	v_add_f16_sdwa v25, v0, v25 dst_sel:DWORD dst_unused:UNUSED_PAD src0_sel:WORD_1 src1_sel:DWORD
	v_mul_f16_sdwa v27, v3, s16 dst_sel:DWORD dst_unused:UNUSED_PAD src0_sel:WORD_1 src1_sel:DWORD
	v_add_f16_e32 v21, v21, v23
	v_fma_f16 v23, v32, s18, -v33
	v_add_f16_sdwa v22, v0, v22 dst_sel:DWORD dst_unused:UNUSED_PAD src0_sel:WORD_1 src1_sel:DWORD
	v_fma_f16 v28, v5, s17, -v27
	v_add_f16_e32 v23, v23, v25
	v_mul_f16_sdwa v25, v6, s19 dst_sel:DWORD dst_unused:UNUSED_PAD src0_sel:WORD_1 src1_sel:DWORD
	v_add_f16_e32 v28, v0, v28
	v_fma_f16 v27, v5, s17, v27
	v_add_f16_e32 v22, v34, v22
	v_fma_f16 v34, v32, s18, v33
	v_fma_f16 v33, v29, s12, -v25
	v_add_f16_e32 v27, v0, v27
	v_add_f16_e32 v28, v33, v28
	v_mul_f16_e32 v33, 0x3beb, v6
	v_fma_f16 v25, v29, s12, v25
	v_add_f16_sdwa v20, v0, v20 dst_sel:DWORD dst_unused:UNUSED_PAD src0_sel:WORD_1 src1_sel:DWORD
	v_add_f16_e32 v25, v25, v27
	v_fma_f16 v27, v32, s12, -v33
	v_add_f16_e32 v20, v27, v20
	v_pk_add_f16 v27, v12, v7
	v_pk_add_f16 v7, v7, v12 neg_lo:[0,1] neg_hi:[0,1]
	v_add_f16_sdwa v26, v0, v26 dst_sel:DWORD dst_unused:UNUSED_PAD src0_sel:WORD_1 src1_sel:DWORD
	v_mul_f16_sdwa v12, v7, s3 dst_sel:DWORD dst_unused:UNUSED_PAD src0_sel:WORD_1 src1_sel:DWORD
	v_add_f16_e32 v26, v34, v26
	v_fma_f16 v34, v32, s12, v33
	v_fma_f16 v32, v27, s12, -v12
	v_fma_f16 v12, v27, s12, v12
	s_mov_b32 s19, 0xb08ebbad
	v_add_f16_e32 v12, v12, v13
	v_pk_mul_f16 v13, v27, s19
	s_mov_b32 s19, 0x3482bbeb
	v_add_f16_e32 v14, v32, v14
	v_pk_fma_f16 v32, v7, s19, v13 op_sel:[0,0,1] op_sel_hi:[1,1,0] neg_lo:[1,0,0] neg_hi:[1,0,0]
	v_pk_fma_f16 v13, v7, s19, v13 op_sel:[0,0,1] op_sel_hi:[1,1,0]
	v_add_f16_sdwa v30, v0, v30 dst_sel:DWORD dst_unused:UNUSED_PAD src0_sel:WORD_1 src1_sel:DWORD
	v_bfi_b32 v33, s2, v13, v32
	v_add_f16_e32 v30, v34, v30
	v_pk_add_f16 v19, v33, v19
	v_lshrrev_b32_e32 v33, 16, v27
	v_mul_f16_e32 v34, 0x3482, v7
	v_alignbit_b32 v13, s0, v13, 16
	v_pk_add_f16 v13, v13, v15
	v_fma_f16 v15, v33, s18, -v34
	s_movk_i32 s19, 0x3b47
	v_add_f16_e32 v15, v15, v17
	v_mul_f16_sdwa v17, v7, s19 dst_sel:DWORD dst_unused:UNUSED_PAD src0_sel:WORD_1 src1_sel:DWORD
	v_fma_f16 v50, v33, s18, v34
	v_fma_f16 v34, v27, s5, -v17
	v_add_f16_e32 v24, v34, v24
	v_mul_f16_e32 v34, 0x3b47, v7
	v_fma_f16 v17, v27, s5, v17
	v_add_f16_e32 v17, v17, v21
	v_fma_f16 v21, v33, s5, -v34
	v_add_f16_e32 v21, v21, v23
	v_mul_f16_sdwa v23, v7, s20 dst_sel:DWORD dst_unused:UNUSED_PAD src0_sel:WORD_1 src1_sel:DWORD
	v_add_f16_e32 v22, v50, v22
	v_fma_f16 v50, v33, s5, v34
	v_fma_f16 v34, v27, s4, -v23
	v_add_f16_e32 v28, v34, v28
	v_mul_f16_e32 v34, 0xb853, v7
	v_fma_f16 v23, v27, s4, v23
	v_add_f16_e32 v23, v23, v25
	v_fma_f16 v25, v33, s4, -v34
	v_add_f16_e32 v20, v25, v20
	v_pk_add_f16 v25, v11, v8
	v_pk_add_f16 v8, v8, v11 neg_lo:[0,1] neg_hi:[0,1]
	v_mul_f16_sdwa v11, v8, s16 dst_sel:DWORD dst_unused:UNUSED_PAD src0_sel:WORD_1 src1_sel:DWORD
	v_add_f16_e32 v26, v50, v26
	v_fma_f16 v50, v33, s4, v34
	v_fma_f16 v33, v25, s17, -v11
	v_fma_f16 v11, v25, s17, v11
	v_add_f16_e32 v11, v11, v12
	v_pk_mul_f16 v12, v25, s21
	s_mov_b32 s21, 0x3bebba0c
	v_add_f16_e32 v14, v33, v14
	v_pk_fma_f16 v33, v8, s21, v12 op_sel:[0,0,1] op_sel_hi:[1,1,0] neg_lo:[1,0,0] neg_hi:[1,0,0]
	v_pk_fma_f16 v12, v8, s21, v12 op_sel:[0,0,1] op_sel_hi:[1,1,0]
	v_bfi_b32 v34, s2, v12, v33
	v_add_f16_e32 v30, v50, v30
	v_pk_add_f16 v19, v34, v19
	v_lshrrev_b32_e32 v34, 16, v25
	v_mul_f16_e32 v50, 0x3beb, v8
	v_fma_f16 v51, v34, s12, v50
	v_fma_f16 v50, v34, s12, -v50
	v_add_f16_e32 v15, v50, v15
	v_mul_f16_sdwa v50, v8, s20 dst_sel:DWORD dst_unused:UNUSED_PAD src0_sel:WORD_1 src1_sel:DWORD
	v_add_f16_e32 v22, v51, v22
	v_fma_f16 v51, v25, s4, -v50
	v_add_f16_e32 v24, v51, v24
	v_mul_f16_e32 v51, 0xb853, v8
	v_fma_f16 v50, v25, s4, v50
	s_mov_b32 s20, 0xb482
	v_fma_f16 v52, v34, s4, v51
	v_add_f16_e32 v17, v50, v17
	v_fma_f16 v50, v34, s4, -v51
	v_mul_f16_sdwa v51, v8, s20 dst_sel:DWORD dst_unused:UNUSED_PAD src0_sel:WORD_1 src1_sel:DWORD
	v_add_f16_e32 v26, v52, v26
	v_fma_f16 v52, v25, s18, -v51
	v_add_f16_e32 v28, v52, v28
	v_mul_f16_e32 v52, 0xb482, v8
	v_fma_f16 v53, v34, s18, v52
	v_fma_f16 v34, v34, s18, -v52
	v_add_f16_e32 v20, v34, v20
	v_pk_add_f16 v34, v10, v9
	v_pk_add_f16 v9, v9, v10 neg_lo:[0,1] neg_hi:[0,1]
	v_fma_f16 v51, v25, s18, v51
	v_mul_f16_sdwa v10, v9, s20 dst_sel:DWORD dst_unused:UNUSED_PAD src0_sel:WORD_1 src1_sel:DWORD
	v_add_f16_e32 v23, v51, v23
	v_fma_f16 v51, v34, s18, -v10
	s_mov_b32 s21, 0xbbad3abb
	v_add_f16_e32 v14, v51, v14
	v_fma_f16 v10, v34, s18, v10
	v_pk_mul_f16 v51, v34, s21
	s_mov_b32 s21, 0x3853b482
	v_add_f16_e32 v30, v53, v30
	v_add_f16_e32 v10, v10, v11
	v_pk_fma_f16 v53, v9, s21, v51 op_sel:[0,0,1] op_sel_hi:[1,1,0] neg_lo:[1,0,0] neg_hi:[1,0,0]
	v_add_f16_sdwa v11, v0, v18 dst_sel:DWORD dst_unused:UNUSED_PAD src0_sel:WORD_1 src1_sel:DWORD
	v_pk_fma_f16 v18, v9, s21, v51 op_sel:[0,0,1] op_sel_hi:[1,1,0]
	v_bfi_b32 v18, s2, v18, v53
	v_add_f16_e32 v11, v31, v11
	v_pk_add_f16 v18, v18, v19
	v_lshrrev_b32_e32 v19, 16, v34
	v_mul_f16_e32 v31, 0x3853, v9
	v_add_f16_e32 v11, v32, v11
	v_fma_f16 v32, v19, s4, v31
	v_fma_f16 v31, v19, s4, -v31
	v_add_f16_e32 v15, v31, v15
	v_mul_f16_sdwa v31, v9, s16 dst_sel:DWORD dst_unused:UNUSED_PAD src0_sel:WORD_1 src1_sel:DWORD
	v_add_f16_e32 v22, v32, v22
	v_fma_f16 v32, v34, s17, -v31
	v_add_f16_e32 v11, v33, v11
	v_add_f16_e32 v24, v32, v24
	v_mul_f16_e32 v32, 0xb93d, v19
	v_fma_f16 v31, v34, s17, v31
	v_add_f16_e32 v11, v53, v11
	v_fma_f16 v53, v9, s16, v32
	v_add_f16_e32 v17, v31, v17
	v_mul_f16_sdwa v31, v9, s19 dst_sel:DWORD dst_unused:UNUSED_PAD src0_sel:WORD_1 src1_sel:DWORD
	v_add_f16_e32 v26, v53, v26
	v_fma_f16 v53, v34, s5, -v31
	v_add_f16_e32 v28, v53, v28
	v_mul_f16_e32 v53, 0x3b47, v9
	v_fma_f16 v54, v19, s5, v53
	v_fma_f16 v19, v19, s5, -v53
	v_add_f16_e32 v30, v54, v30
	v_add_f16_e32 v19, v19, v20
	v_alignbit_b32 v20, v22, v18, 16
	v_pack_b32_f16 v14, v14, v18
	s_barrier
	ds_write2_b32 v49, v14, v20 offset0:1 offset1:2
	v_pack_b32_f16 v14, v28, v30
	v_pack_b32_f16 v18, v24, v26
	v_pk_mul_f16 v5, v5, s18 op_sel_hi:[1,0]
	ds_write2_b32 v49, v18, v14 offset0:3 offset1:4
	v_pk_fma_f16 v14, v3, s20, v5 op_sel:[0,0,1] op_sel_hi:[1,0,0] neg_lo:[1,0,0] neg_hi:[1,0,0]
	v_alignbit_b32 v18, s0, v14, 16
	v_pk_fma_f16 v3, v3, s20, v5 op_sel:[0,0,1] op_sel_hi:[1,0,0]
	v_alignbit_b32 v1, s0, v0, 16
	v_pk_mul_f16 v52, v9, s21
	s_movk_i32 s21, 0x3853
	v_pk_add_f16 v18, v0, v18
	v_pk_add_f16 v0, v0, v3 op_sel:[1,0] op_sel_hi:[0,1]
	v_pk_mul_f16 v3, v29, s4 op_sel_hi:[1,0]
	v_pk_fma_f16 v5, v6, s21, v3 op_sel:[0,0,1] op_sel_hi:[1,0,0] neg_lo:[1,0,0] neg_hi:[1,0,0]
	v_pk_fma_f16 v3, v6, s21, v3 op_sel:[0,0,1] op_sel_hi:[1,0,0]
	v_pk_add_f16 v1, v1, v14
	v_pk_add_f16 v0, v3, v0
	v_pk_mul_f16 v3, v27, s17 op_sel_hi:[1,0]
	v_alignbit_b32 v14, s0, v5, 16
	v_pk_add_f16 v1, v5, v1
	v_pk_fma_f16 v5, v7, s16, v3 op_sel:[0,0,1] op_sel_hi:[1,0,0] neg_lo:[1,0,0] neg_hi:[1,0,0]
	v_pk_fma_f16 v3, v7, s16, v3 op_sel:[0,0,1] op_sel_hi:[1,0,0]
	v_pk_add_f16 v0, v3, v0
	v_pk_mul_f16 v3, v25, s5 op_sel_hi:[1,0]
	v_alignbit_b32 v6, s0, v5, 16
	v_pk_add_f16 v1, v5, v1
	v_pk_fma_f16 v5, v8, s19, v3 op_sel:[0,0,1] op_sel_hi:[1,0,0] neg_lo:[1,0,0] neg_hi:[1,0,0]
	v_pk_fma_f16 v3, v8, s19, v3 op_sel:[0,0,1] op_sel_hi:[1,0,0]
	v_pk_add_f16 v14, v14, v18
	v_pk_add_f16 v0, v3, v0
	v_pk_mul_f16 v3, v34, s12 op_sel_hi:[1,0]
	v_pk_add_f16 v6, v6, v14
	v_alignbit_b32 v7, s0, v5, 16
	v_pk_add_f16 v1, v5, v1
	v_pk_fma_f16 v5, v9, s3, v3 op_sel:[0,0,1] op_sel_hi:[1,0,0] neg_lo:[1,0,0] neg_hi:[1,0,0]
	v_pk_add_f16 v6, v7, v6
	v_alignbit_b32 v7, s0, v5, 16
	v_pk_fma_f16 v3, v9, s3, v3 op_sel:[0,0,1] op_sel_hi:[1,0,0]
	v_fma_f16 v31, v34, s5, v31
	v_pk_add_f16 v6, v7, v6
	v_pk_add_f16 v0, v3, v0
	;; [unrolled: 1-line block ×3, first 2 shown]
	v_add_f16_e32 v23, v31, v23
	v_alignbit_b32 v1, v1, v0, 16
	v_pack_b32_f16 v0, v6, v0
	ds_write2_b32 v49, v0, v1 offset0:5 offset1:6
	v_pack_b32_f16 v0, v23, v19
	ds_write2_b32 v49, v2, v0 offset1:7
	v_pack_b32_f16 v0, v50, v51
	v_bfi_b32 v1, s2, v21, v52
	v_mul_f16_e32 v33, 0xba0c, v9
	v_pk_add_f16 v0, v0, v1
	v_lshlrev_b32_e32 v1, 16, v13
	v_pk_add_f16 v2, v32, v33 neg_lo:[0,1] neg_hi:[0,1]
	v_pk_add_f16 v1, v12, v1
	v_bfi_b32 v1, s2, v2, v1
	v_pk_add_f16 v0, v1, v0
	v_alignbit_b32 v1, v15, v0, 16
	v_pack_b32_f16 v0, v17, v0
	ds_write2_b32 v49, v0, v1 offset0:8 offset1:9
	v_pack_b32_f16 v0, v10, v11
	ds_write_b32 v49, v0 offset:40
	v_add_u32_e32 v0, 0x980, v35
	v_add_u32_e32 v5, 0xf00, v35
	v_add_u32_e32 v6, 0x1400, v35
	s_waitcnt lgkmcnt(0)
	s_barrier
	ds_read2_b32 v[2:3], v35 offset1:154
	ds_read2_b32 v[0:1], v0 offset0:8 offset1:239
	ds_read2_b32 v[8:9], v5 offset0:41 offset1:195
	;; [unrolled: 1-line block ×4, first 2 shown]
	s_movk_i32 s2, 0x4d
	v_cmp_gt_u16_e64 s[2:3], s2, v45
                                        ; implicit-def: $vgpr13
                                        ; implicit-def: $vgpr12
	s_and_saveexec_b64 s[4:5], s[2:3]
	s_cbranch_execz .LBB0_3
; %bb.2:
	ds_read_b32 v10, v35 offset:3080
	ds_read_b32 v13, v35 offset:6468
	s_waitcnt lgkmcnt(1)
	v_lshrrev_b32_e32 v11, 16, v10
	s_waitcnt lgkmcnt(0)
	v_lshrrev_b32_e32 v12, 16, v13
.LBB0_3:
	s_or_b64 exec, exec, s[4:5]
	s_movk_i32 s4, 0x134
	v_add_co_u32_e32 v14, vcc, s4, v45
	s_movk_i32 s4, 0x1ce
	v_add_co_u32_e32 v15, vcc, s4, v45
	;; [unrolled: 2-line block ×3, first 2 shown]
	s_movk_i32 s4, 0x75
	v_mul_lo_u16_sdwa v29, v45, s4 dst_sel:DWORD dst_unused:UNUSED_PAD src0_sel:BYTE_0 src1_sel:DWORD
	v_sub_u16_sdwa v30, v45, v29 dst_sel:DWORD dst_unused:UNUSED_PAD src0_sel:DWORD src1_sel:BYTE_1
	v_lshrrev_b16_e32 v30, 1, v30
	v_and_b32_e32 v30, 0x7f, v30
	v_add_u16_sdwa v29, v30, v29 dst_sel:DWORD dst_unused:UNUSED_PAD src0_sel:DWORD src1_sel:BYTE_1
	v_lshrrev_b16_e32 v29, 3, v29
	v_mul_lo_u16_e32 v30, 11, v29
	v_sub_u16_e32 v30, v45, v30
	v_and_b32_e32 v30, 0xff, v30
	v_lshlrev_b32_e32 v31, 2, v30
	global_load_dword v50, v31, s[14:15]
	s_waitcnt lgkmcnt(3)
	v_lshrrev_b32_e32 v20, 16, v1
	v_add_co_u32_e32 v17, vcc, 0x9a, v45
	s_mov_b32 s4, 0xba2f
	s_waitcnt lgkmcnt(2)
	v_lshrrev_b32_e32 v22, 16, v8
	v_lshrrev_b32_e32 v24, 16, v9
	s_waitcnt lgkmcnt(0)
	v_lshrrev_b32_e32 v26, 16, v6
	v_lshrrev_b32_e32 v28, 16, v7
	;; [unrolled: 1-line block ×7, first 2 shown]
	s_waitcnt vmcnt(0)
	v_mul_f16_sdwa v31, v20, v50 dst_sel:DWORD dst_unused:UNUSED_PAD src0_sel:DWORD src1_sel:WORD_1
	v_fma_f16 v31, v1, v50, -v31
	v_mul_f16_sdwa v1, v1, v50 dst_sel:DWORD dst_unused:UNUSED_PAD src0_sel:DWORD src1_sel:WORD_1
	v_fma_f16 v1, v20, v50, v1
	v_mul_u32_u24_sdwa v20, v17, s4 dst_sel:DWORD dst_unused:UNUSED_PAD src0_sel:WORD_0 src1_sel:DWORD
	v_lshrrev_b32_e32 v20, 19, v20
	v_mul_lo_u16_e32 v32, 11, v20
	v_sub_u16_e32 v32, v17, v32
	v_lshlrev_b32_e32 v33, 2, v32
	global_load_dword v53, v33, s[14:15]
	v_sub_f16_e32 v1, v19, v1
	v_fma_f16 v19, v19, 2.0, -v1
	s_waitcnt vmcnt(0)
	v_mul_f16_sdwa v33, v22, v53 dst_sel:DWORD dst_unused:UNUSED_PAD src0_sel:DWORD src1_sel:WORD_1
	v_fma_f16 v33, v8, v53, -v33
	v_mul_f16_sdwa v8, v8, v53 dst_sel:DWORD dst_unused:UNUSED_PAD src0_sel:DWORD src1_sel:WORD_1
	v_fma_f16 v8, v22, v53, v8
	v_mul_u32_u24_sdwa v22, v14, s4 dst_sel:DWORD dst_unused:UNUSED_PAD src0_sel:WORD_0 src1_sel:DWORD
	v_lshrrev_b32_e32 v22, 19, v22
	v_mul_lo_u16_e32 v34, 11, v22
	v_sub_u16_e32 v14, v14, v34
	v_lshlrev_b32_e32 v34, 2, v14
	global_load_dword v54, v34, s[14:15]
	v_sub_f16_e32 v8, v21, v8
	v_fma_f16 v21, v21, 2.0, -v8
	s_waitcnt vmcnt(0)
	v_mul_f16_sdwa v34, v24, v54 dst_sel:DWORD dst_unused:UNUSED_PAD src0_sel:DWORD src1_sel:WORD_1
	v_fma_f16 v34, v9, v54, -v34
	v_mul_f16_sdwa v9, v9, v54 dst_sel:DWORD dst_unused:UNUSED_PAD src0_sel:DWORD src1_sel:WORD_1
	v_fma_f16 v9, v24, v54, v9
	v_mul_u32_u24_sdwa v24, v15, s4 dst_sel:DWORD dst_unused:UNUSED_PAD src0_sel:WORD_0 src1_sel:DWORD
	v_lshrrev_b32_e32 v24, 19, v24
	v_mul_lo_u16_e32 v51, 11, v24
	v_sub_u16_e32 v15, v15, v51
	v_lshlrev_b32_e32 v51, 2, v15
	global_load_dword v55, v51, s[14:15]
	v_sub_f16_e32 v9, v23, v9
	s_waitcnt vmcnt(0)
	v_mul_f16_sdwa v51, v26, v55 dst_sel:DWORD dst_unused:UNUSED_PAD src0_sel:DWORD src1_sel:WORD_1
	v_fma_f16 v58, v6, v55, -v51
	v_mul_f16_sdwa v6, v6, v55 dst_sel:DWORD dst_unused:UNUSED_PAD src0_sel:DWORD src1_sel:WORD_1
	v_fma_f16 v6, v26, v55, v6
	v_mul_u32_u24_sdwa v26, v18, s4 dst_sel:DWORD dst_unused:UNUSED_PAD src0_sel:WORD_0 src1_sel:DWORD
	v_lshrrev_b32_e32 v26, 19, v26
	v_mul_lo_u16_e32 v51, 11, v26
	v_sub_u16_e32 v18, v18, v51
	v_lshlrev_b32_e32 v51, 2, v18
	global_load_dword v56, v51, s[14:15]
	v_sub_f16_e32 v62, v5, v58
	v_sub_f16_e32 v6, v25, v6
	v_fma_f16 v5, v5, 2.0, -v62
	v_fma_f16 v25, v25, 2.0, -v6
	s_waitcnt vmcnt(0)
	v_mul_f16_sdwa v51, v28, v56 dst_sel:DWORD dst_unused:UNUSED_PAD src0_sel:DWORD src1_sel:WORD_1
	v_fma_f16 v59, v7, v56, -v51
	v_mul_f16_sdwa v7, v7, v56 dst_sel:DWORD dst_unused:UNUSED_PAD src0_sel:DWORD src1_sel:WORD_1
	v_fma_f16 v7, v28, v56, v7
	v_add_u16_e32 v28, 0x302, v45
	v_mul_u32_u24_e32 v51, 0xba2f, v28
	v_lshrrev_b32_e32 v51, 19, v51
	v_mul_lo_u16_e32 v52, 11, v51
	v_sub_u16_e32 v52, v28, v52
	v_lshlrev_b32_e32 v28, 2, v52
	global_load_dword v57, v28, s[14:15]
	s_waitcnt vmcnt(0)
	s_barrier
	v_sub_f16_e32 v63, v0, v59
	v_sub_f16_e32 v7, v27, v7
	v_fma_f16 v0, v0, 2.0, -v63
	v_fma_f16 v27, v27, 2.0, -v7
	v_pack_b32_f16 v0, v0, v27
	v_mul_f16_sdwa v28, v12, v57 dst_sel:DWORD dst_unused:UNUSED_PAD src0_sel:DWORD src1_sel:WORD_1
	v_fma_f16 v28, v13, v57, -v28
	v_mul_f16_sdwa v13, v13, v57 dst_sel:DWORD dst_unused:UNUSED_PAD src0_sel:DWORD src1_sel:WORD_1
	v_fma_f16 v12, v12, v57, v13
	v_sub_f16_e32 v13, v2, v31
	v_fma_f16 v2, v2, 2.0, -v13
	v_sub_f16_e32 v64, v11, v12
	v_mul_u32_u24_e32 v12, 22, v29
	v_sub_f16_e32 v31, v3, v33
	v_add_lshl_u32 v58, v12, v30, 2
	v_pack_b32_f16 v2, v2, v19
	v_pack_b32_f16 v1, v13, v1
	v_fma_f16 v3, v3, 2.0, -v31
	ds_write2_b32 v58, v2, v1 offset1:11
	v_mad_legacy_u16 v1, v20, 22, v32
	v_sub_f16_e32 v33, v4, v34
	v_lshlrev_b32_e32 v59, 2, v1
	v_pack_b32_f16 v1, v3, v21
	v_pack_b32_f16 v2, v31, v8
	v_fma_f16 v4, v4, 2.0, -v33
	v_fma_f16 v34, v23, 2.0, -v9
	ds_write2_b32 v59, v1, v2 offset1:11
	v_mad_legacy_u16 v1, v22, 22, v14
	v_lshlrev_b32_e32 v60, 2, v1
	v_pack_b32_f16 v1, v4, v34
	v_pack_b32_f16 v2, v33, v9
	ds_write2_b32 v60, v1, v2 offset1:11
	v_mad_legacy_u16 v1, v24, 22, v15
	v_lshlrev_b32_e32 v61, 2, v1
	v_pack_b32_f16 v1, v5, v25
	v_pack_b32_f16 v2, v62, v6
	ds_write2_b32 v61, v1, v2 offset1:11
	v_mad_legacy_u16 v1, v26, 22, v18
	v_sub_f16_e32 v23, v10, v28
	v_lshlrev_b32_e32 v62, 2, v1
	v_pack_b32_f16 v1, v63, v7
	ds_write2_b32 v62, v0, v1 offset1:11
	s_and_saveexec_b64 s[4:5], s[2:3]
	s_cbranch_execz .LBB0_5
; %bb.4:
	v_fma_f16 v0, v10, 2.0, -v23
	v_fma_f16 v1, v11, 2.0, -v64
	v_mad_legacy_u16 v2, v51, 22, v52
	s_mov_b32 s12, 0x5040100
	v_lshlrev_b32_e32 v2, 2, v2
	v_pack_b32_f16 v0, v0, v1
	v_perm_b32 v1, v64, v23, s12
	ds_write2_b32 v2, v0, v1 offset1:11
.LBB0_5:
	s_or_b64 exec, exec, s[4:5]
	v_lshrrev_b16_e32 v0, 1, v45
	v_and_b32_e32 v0, 0x7f, v0
	v_mul_lo_u16_e32 v0, 0xbb, v0
	v_lshrrev_b16_e32 v18, 11, v0
	v_mul_lo_u16_e32 v0, 22, v18
	v_sub_u16_e32 v0, v45, v0
	v_and_b32_e32 v24, 0xff, v0
	v_mad_u64_u32 v[0:1], s[4:5], v24, 40, s[14:15]
	s_waitcnt lgkmcnt(0)
	s_barrier
	global_load_dwordx4 v[4:7], v[0:1], off offset:44
	global_load_dwordx4 v[8:11], v[0:1], off offset:60
	global_load_dwordx2 v[19:20], v[0:1], off offset:76
	ds_read2_b32 v[0:1], v35 offset1:154
	v_add_u32_e32 v2, 0x400, v35
	v_add_u32_e32 v12, 0x900, v35
	;; [unrolled: 1-line block ×4, first 2 shown]
	ds_read_b32 v25, v35 offset:6160
	ds_read2_b32 v[2:3], v2 offset0:52 offset1:206
	ds_read2_b32 v[12:13], v12 offset0:40 offset1:194
	;; [unrolled: 1-line block ×4, first 2 shown]
	s_waitcnt lgkmcnt(5)
	v_lshrrev_b32_e32 v26, 16, v1
	s_waitcnt lgkmcnt(3)
	v_lshrrev_b32_e32 v28, 16, v2
	v_lshrrev_b32_e32 v29, 16, v3
	s_waitcnt lgkmcnt(2)
	v_lshrrev_b32_e32 v30, 16, v12
	;; [unrolled: 3-line block ×4, first 2 shown]
	v_lshrrev_b32_e32 v27, 16, v25
	v_lshrrev_b32_e32 v63, 16, v22
	s_movk_i32 s4, 0x3abb
	s_movk_i32 s5, 0x36a6
	s_mov_b32 s12, 0xb08e
	s_mov_b32 s16, 0xb93d
	;; [unrolled: 1-line block ×3, first 2 shown]
	s_waitcnt vmcnt(0)
	s_barrier
	v_mul_f16_sdwa v65, v26, v4 dst_sel:DWORD dst_unused:UNUSED_PAD src0_sel:DWORD src1_sel:WORD_1
	v_mul_f16_sdwa v66, v1, v4 dst_sel:DWORD dst_unused:UNUSED_PAD src0_sel:DWORD src1_sel:WORD_1
	;; [unrolled: 1-line block ×4, first 2 shown]
	v_fma_f16 v1, v1, v4, -v65
	v_fma_f16 v26, v26, v4, v66
	v_mul_f16_sdwa v69, v29, v6 dst_sel:DWORD dst_unused:UNUSED_PAD src0_sel:DWORD src1_sel:WORD_1
	v_mul_f16_sdwa v70, v3, v6 dst_sel:DWORD dst_unused:UNUSED_PAD src0_sel:DWORD src1_sel:WORD_1
	v_fma_f16 v2, v2, v5, -v67
	v_fma_f16 v28, v28, v5, v68
	v_add_f16_e32 v65, v0, v1
	v_add_f16_sdwa v66, v0, v26 dst_sel:DWORD dst_unused:UNUSED_PAD src0_sel:WORD_1 src1_sel:DWORD
	v_mul_f16_sdwa v71, v30, v7 dst_sel:DWORD dst_unused:UNUSED_PAD src0_sel:DWORD src1_sel:WORD_1
	v_mul_f16_sdwa v72, v12, v7 dst_sel:DWORD dst_unused:UNUSED_PAD src0_sel:DWORD src1_sel:WORD_1
	v_fma_f16 v3, v3, v6, -v69
	v_fma_f16 v29, v29, v6, v70
	v_add_f16_e32 v65, v65, v2
	v_add_f16_e32 v66, v66, v28
	v_mul_f16_sdwa v73, v31, v8 dst_sel:DWORD dst_unused:UNUSED_PAD src0_sel:DWORD src1_sel:WORD_1
	v_mul_f16_sdwa v74, v13, v8 dst_sel:DWORD dst_unused:UNUSED_PAD src0_sel:DWORD src1_sel:WORD_1
	v_fma_f16 v12, v12, v7, -v71
	v_fma_f16 v30, v30, v7, v72
	v_add_f16_e32 v65, v65, v3
	v_add_f16_e32 v66, v66, v29
	;; [unrolled: 6-line block ×5, first 2 shown]
	v_mul_f16_sdwa v81, v63, v19 dst_sel:DWORD dst_unused:UNUSED_PAD src0_sel:DWORD src1_sel:WORD_1
	v_mul_f16_sdwa v82, v22, v19 dst_sel:DWORD dst_unused:UNUSED_PAD src0_sel:DWORD src1_sel:WORD_1
	;; [unrolled: 1-line block ×4, first 2 shown]
	v_fma_f16 v21, v21, v11, -v79
	v_fma_f16 v34, v34, v11, v80
	v_add_f16_e32 v65, v65, v15
	v_add_f16_e32 v66, v66, v33
	v_fma_f16 v22, v22, v19, -v81
	v_fma_f16 v63, v63, v19, v82
	v_fma_f16 v25, v25, v20, -v83
	v_fma_f16 v27, v27, v20, v84
	v_add_f16_e32 v65, v65, v21
	v_add_f16_e32 v66, v66, v34
	;; [unrolled: 1-line block ×4, first 2 shown]
	v_sub_f16_e32 v1, v1, v25
	v_sub_f16_e32 v26, v26, v27
	v_add_f16_e32 v65, v65, v22
	v_add_f16_e32 v66, v66, v63
	v_mul_f16_e32 v69, 0xb853, v26
	v_add_f16_e32 v71, v65, v25
	v_add_f16_e32 v72, v66, v27
	v_mul_f16_e32 v25, 0xb853, v1
	v_mul_f16_e32 v66, 0xbb47, v26
	v_mul_f16_e32 v73, 0xbb47, v1
	v_mul_f16_e32 v75, 0xbbeb, v26
	v_mul_f16_e32 v77, 0xbbeb, v1
	v_mul_f16_e32 v79, 0xba0c, v26
	v_mul_f16_e32 v81, 0xba0c, v1
	v_mul_f16_e32 v26, 0xb482, v26
	v_mul_f16_e32 v1, 0xb482, v1
	v_fma_f16 v70, v67, s4, -v69
	v_fma_f16 v27, v68, s4, v25
	v_fma_f16 v65, v67, s4, v69
	v_fma_f16 v25, v68, s4, -v25
	v_fma_f16 v69, v67, s5, -v66
	v_fma_f16 v74, v68, s5, v73
	v_fma_f16 v66, v67, s5, v66
	v_fma_f16 v73, v68, s5, -v73
	;; [unrolled: 4-line block ×5, first 2 shown]
	v_add_f16_e32 v70, v0, v70
	v_add_f16_sdwa v27, v0, v27 dst_sel:DWORD dst_unused:UNUSED_PAD src0_sel:WORD_1 src1_sel:DWORD
	v_add_f16_e32 v65, v0, v65
	v_add_f16_sdwa v25, v0, v25 dst_sel:DWORD dst_unused:UNUSED_PAD src0_sel:WORD_1 src1_sel:DWORD
	;; [unrolled: 2-line block ×10, first 2 shown]
	v_add_f16_e32 v1, v2, v22
	v_sub_f16_e32 v2, v2, v22
	v_sub_f16_e32 v22, v28, v63
	v_add_f16_e32 v67, v28, v63
	v_mul_f16_e32 v28, 0xbb47, v22
	v_fma_f16 v63, v1, s5, -v28
	v_mul_f16_e32 v68, 0xbb47, v2
	v_fma_f16 v28, v1, s5, v28
	v_add_f16_e32 v28, v28, v65
	v_fma_f16 v65, v67, s5, -v68
	v_add_f16_e32 v25, v65, v25
	v_mul_f16_e32 v65, 0xba0c, v22
	v_add_f16_e32 v63, v63, v70
	v_fma_f16 v70, v67, s5, v68
	v_fma_f16 v68, v1, s16, -v65
	v_add_f16_e32 v68, v68, v69
	v_mul_f16_e32 v69, 0xba0c, v2
	v_fma_f16 v65, v1, s16, v65
	v_add_f16_e32 v27, v70, v27
	v_fma_f16 v70, v67, s16, v69
	v_add_f16_e32 v65, v65, v66
	v_fma_f16 v66, v67, s16, -v69
	v_mul_f16_e32 v69, 0x3482, v22
	v_add_f16_e32 v70, v70, v74
	v_add_f16_e32 v66, v66, v73
	v_fma_f16 v73, v1, s17, -v69
	v_mul_f16_e32 v74, 0x3482, v2
	v_fma_f16 v69, v1, s17, v69
	v_add_f16_e32 v73, v73, v76
	v_fma_f16 v76, v67, s17, v74
	v_add_f16_e32 v69, v69, v75
	v_fma_f16 v74, v67, s17, -v74
	v_mul_f16_e32 v75, 0x3beb, v22
	v_add_f16_e32 v76, v76, v78
	v_add_f16_e32 v74, v74, v77
	v_fma_f16 v77, v1, s12, -v75
	v_mul_f16_e32 v78, 0x3beb, v2
	v_add_f16_e32 v77, v77, v80
	v_fma_f16 v80, v67, s12, v78
	v_fma_f16 v78, v67, s12, -v78
	v_mul_f16_e32 v2, 0x3853, v2
	v_fma_f16 v75, v1, s12, v75
	v_add_f16_e32 v78, v78, v81
	v_mul_f16_e32 v22, 0x3853, v22
	v_fma_f16 v81, v67, s4, v2
	v_fma_f16 v2, v67, s4, -v2
	v_add_f16_e32 v75, v75, v79
	v_fma_f16 v79, v1, s4, -v22
	v_fma_f16 v1, v1, s4, v22
	v_add_f16_e32 v0, v2, v0
	v_add_f16_e32 v2, v3, v21
	v_sub_f16_e32 v3, v3, v21
	v_sub_f16_e32 v21, v29, v34
	v_add_f16_e32 v1, v1, v26
	v_mul_f16_e32 v26, 0xbbeb, v21
	v_add_f16_e32 v22, v29, v34
	v_fma_f16 v29, v2, s12, -v26
	v_mul_f16_e32 v34, 0xbbeb, v3
	v_fma_f16 v26, v2, s12, v26
	v_add_f16_e32 v26, v26, v28
	v_fma_f16 v28, v22, s12, -v34
	v_add_f16_e32 v29, v29, v63
	v_fma_f16 v63, v22, s12, v34
	v_add_f16_e32 v25, v28, v25
	v_mul_f16_e32 v28, 0x3482, v21
	v_add_f16_e32 v27, v63, v27
	v_fma_f16 v34, v2, s17, -v28
	v_mul_f16_e32 v63, 0x3482, v3
	v_fma_f16 v28, v2, s17, v28
	v_fma_f16 v67, v22, s17, v63
	v_add_f16_e32 v28, v28, v65
	v_fma_f16 v63, v22, s17, -v63
	v_mul_f16_e32 v65, 0x3b47, v21
	v_add_f16_e32 v63, v63, v66
	v_fma_f16 v66, v2, s5, -v65
	v_fma_f16 v65, v2, s5, v65
	v_add_f16_e32 v34, v34, v68
	v_mul_f16_e32 v68, 0x3b47, v3
	v_add_f16_e32 v65, v65, v69
	v_mul_f16_e32 v69, 0xb853, v21
	v_add_f16_e32 v67, v67, v70
	v_add_f16_e32 v66, v66, v73
	v_fma_f16 v70, v22, s5, v68
	v_fma_f16 v68, v22, s5, -v68
	v_fma_f16 v73, v2, s4, -v69
	v_fma_f16 v69, v2, s4, v69
	v_mul_f16_e32 v21, 0xba0c, v21
	v_add_f16_e32 v68, v68, v74
	v_mul_f16_e32 v74, 0xb853, v3
	v_add_f16_e32 v69, v69, v75
	v_fma_f16 v75, v2, s16, -v21
	v_mul_f16_e32 v3, 0xba0c, v3
	v_fma_f16 v2, v2, s16, v21
	v_add_f16_e32 v1, v2, v1
	v_fma_f16 v2, v22, s16, -v3
	v_add_f16_e32 v0, v2, v0
	v_add_f16_e32 v2, v12, v15
	v_sub_f16_e32 v12, v12, v15
	v_sub_f16_e32 v15, v30, v33
	v_mul_f16_e32 v21, 0xba0c, v15
	v_add_f16_e32 v70, v70, v76
	v_add_f16_e32 v73, v73, v77
	v_fma_f16 v76, v22, s4, v74
	v_fma_f16 v74, v22, s4, -v74
	v_fma_f16 v77, v22, s16, v3
	v_fma_f16 v22, v2, s16, -v21
	v_add_f16_e32 v3, v30, v33
	v_add_f16_e32 v22, v22, v29
	v_mul_f16_e32 v29, 0xba0c, v12
	v_fma_f16 v21, v2, s16, v21
	v_add_f16_e32 v21, v21, v26
	v_fma_f16 v26, v3, s16, -v29
	v_fma_f16 v30, v3, s16, v29
	v_add_f16_e32 v25, v26, v25
	v_mul_f16_e32 v26, 0x3beb, v15
	v_add_f16_e32 v27, v30, v27
	v_fma_f16 v29, v2, s12, -v26
	v_mul_f16_e32 v30, 0x3beb, v12
	v_fma_f16 v26, v2, s12, v26
	v_add_f16_e32 v26, v26, v28
	v_fma_f16 v28, v3, s12, -v30
	v_fma_f16 v33, v3, s12, v30
	v_add_f16_e32 v30, v28, v63
	v_mul_f16_e32 v28, 0xb853, v15
	v_add_f16_e32 v29, v29, v34
	v_fma_f16 v34, v2, s4, -v28
	v_mul_f16_e32 v63, 0xb853, v12
	v_fma_f16 v28, v2, s4, v28
	v_add_f16_e32 v65, v28, v65
	v_fma_f16 v28, v3, s4, -v63
	v_add_f16_e32 v34, v34, v66
	v_fma_f16 v66, v3, s4, v63
	v_add_f16_e32 v63, v28, v68
	v_mul_f16_e32 v28, 0xb482, v15
	v_add_f16_e32 v70, v66, v70
	v_fma_f16 v66, v2, s17, -v28
	v_add_f16_e32 v68, v66, v73
	v_mul_f16_e32 v66, 0xb482, v12
	v_fma_f16 v28, v2, s17, v28
	v_add_f16_e32 v74, v74, v78
	v_add_f16_e32 v69, v28, v69
	v_fma_f16 v28, v3, s17, -v66
	v_mul_f16_e32 v15, 0x3b47, v15
	v_add_f16_e32 v79, v79, v83
	v_add_f16_e32 v74, v28, v74
	v_fma_f16 v28, v2, s5, -v15
	v_mul_f16_e32 v12, 0x3b47, v12
	v_fma_f16 v2, v2, s5, v15
	v_add_f16_e32 v75, v75, v79
	v_add_f16_e32 v1, v2, v1
	v_fma_f16 v2, v3, s5, -v12
	v_add_f16_e32 v75, v28, v75
	v_fma_f16 v28, v3, s5, v12
	v_add_f16_e32 v0, v2, v0
	v_add_f16_e32 v2, v13, v14
	v_sub_f16_e32 v12, v13, v14
	v_sub_f16_e32 v13, v31, v32
	v_mul_f16_e32 v14, 0xb482, v13
	v_add_f16_e32 v80, v80, v82
	v_add_f16_e32 v81, v81, v84
	v_fma_f16 v15, v2, s17, -v14
	v_add_f16_e32 v76, v76, v80
	v_add_f16_e32 v77, v77, v81
	v_add_f16_e32 v33, v33, v67
	v_fma_f16 v67, v3, s17, v66
	v_add_f16_e32 v3, v31, v32
	v_add_f16_e32 v15, v15, v22
	v_mul_f16_e32 v22, 0xb482, v12
	v_add_f16_e32 v73, v67, v76
	v_add_f16_e32 v76, v28, v77
	v_fma_f16 v28, v3, s17, v22
	v_fma_f16 v14, v2, s17, v14
	v_add_f16_e32 v31, v28, v27
	v_add_f16_e32 v28, v14, v21
	v_fma_f16 v14, v3, s17, -v22
	v_add_f16_e32 v66, v14, v25
	v_mul_f16_e32 v14, 0x3853, v13
	v_fma_f16 v21, v2, s4, -v14
	v_mul_f16_e32 v22, 0x3853, v12
	v_fma_f16 v14, v2, s4, v14
	v_fma_f16 v25, v3, s4, v22
	v_add_f16_e32 v27, v14, v26
	v_fma_f16 v14, v3, s4, -v22
	v_add_f16_e32 v21, v21, v29
	v_add_f16_e32 v29, v25, v33
	;; [unrolled: 1-line block ×3, first 2 shown]
	v_mul_f16_e32 v14, 0xba0c, v13
	v_mul_f16_e32 v25, 0xba0c, v12
	v_fma_f16 v22, v2, s16, -v14
	v_fma_f16 v26, v3, s16, v25
	v_fma_f16 v14, v2, s16, v14
	v_add_f16_e32 v30, v26, v70
	v_add_f16_e32 v26, v14, v65
	v_fma_f16 v14, v3, s16, -v25
	v_add_f16_e32 v70, v14, v63
	v_mul_f16_e32 v14, 0x3b47, v13
	v_fma_f16 v25, v2, s5, -v14
	v_mul_f16_e32 v33, 0x3b47, v12
	v_add_f16_e32 v32, v25, v68
	v_fma_f16 v25, v3, s5, v33
	v_fma_f16 v14, v2, s5, v14
	v_add_f16_e32 v22, v22, v34
	v_add_f16_e32 v34, v25, v73
	;; [unrolled: 1-line block ×3, first 2 shown]
	v_fma_f16 v14, v3, s5, -v33
	v_mul_f16_e32 v13, 0xbbeb, v13
	v_add_f16_e32 v65, v14, v74
	v_fma_f16 v14, v2, s12, -v13
	v_mul_f16_e32 v12, 0xbbeb, v12
	v_fma_f16 v2, v2, s12, v13
	v_add_f16_e32 v1, v2, v1
	v_fma_f16 v2, v3, s12, -v12
	v_add_f16_e32 v0, v2, v0
	v_mul_u32_u24_e32 v2, 0xf2, v18
	v_fma_f16 v33, v3, s12, v12
	v_add_lshl_u32 v63, v2, v24, 2
	v_pack_b32_f16 v2, v71, v72
	v_pack_b32_f16 v3, v15, v31
	;; [unrolled: 1-line block ×4, first 2 shown]
	v_add_f16_e32 v14, v14, v75
	v_add_f16_e32 v33, v33, v76
	ds_write2_b32 v63, v2, v3 offset1:22
	v_pack_b32_f16 v2, v21, v29
	v_pack_b32_f16 v3, v22, v30
	ds_write2_b32 v63, v0, v1 offset0:132 offset1:154
	v_pack_b32_f16 v0, v26, v70
	v_pack_b32_f16 v1, v27, v67
	ds_write2_b32 v63, v2, v3 offset0:44 offset1:66
	;; [unrolled: 3-line block ×3, first 2 shown]
	v_pack_b32_f16 v0, v28, v66
	v_add_u32_e32 v68, 0x780, v35
	v_add_u32_e32 v69, 0xf00, v35
	ds_write2_b32 v63, v2, v3 offset0:88 offset1:110
	ds_write_b32 v63, v0 offset:880
	s_waitcnt lgkmcnt(0)
	s_barrier
	ds_read2_b32 v[29:30], v35 offset1:242
	ds_read2_b32 v[31:32], v68 offset0:4 offset1:246
	ds_read2_b32 v[33:34], v69 offset0:8 offset1:250
	ds_read_b32 v71, v35 offset:5808
	s_movk_i32 s4, 0x58
	v_cmp_gt_u16_e64 s[4:5], s4, v45
                                        ; implicit-def: $vgpr73
                                        ; implicit-def: $vgpr72
                                        ; implicit-def: $vgpr74
	s_and_saveexec_b64 s[16:17], s[4:5]
	s_cbranch_execz .LBB0_7
; %bb.6:
	v_add_u32_e32 v0, 0x240, v35
	ds_read2_b32 v[25:26], v0 offset0:10 offset1:252
	v_add_u32_e32 v0, 0x9e0, v35
	v_add_u32_e32 v1, 0x1180, v35
	ds_read2_b32 v[27:28], v0 offset0:6 offset1:248
	ds_read2_b32 v[23:24], v1 offset0:2 offset1:244
	ds_read_b32 v72, v35 offset:6424
	s_waitcnt lgkmcnt(3)
	v_lshrrev_b32_e32 v65, 16, v25
	v_lshrrev_b32_e32 v70, 16, v26
	s_waitcnt lgkmcnt(2)
	v_lshrrev_b32_e32 v67, 16, v27
	v_lshrrev_b32_e32 v66, 16, v28
	s_waitcnt lgkmcnt(1)
	v_lshrrev_b32_e32 v64, 16, v23
	v_lshrrev_b32_e32 v73, 16, v24
	s_waitcnt lgkmcnt(0)
	v_lshrrev_b32_e32 v74, 16, v72
.LBB0_7:
	s_or_b64 exec, exec, s[16:17]
	v_mad_u64_u32 v[0:1], s[16:17], v45, 24, s[14:15]
	v_add_u32_e32 v2, 0xffffffa8, v45
	v_cndmask_b32_e64 v2, v2, v17, s[4:5]
	global_load_dwordx4 v[12:15], v[0:1], off offset:924
	global_load_dwordx2 v[21:22], v[0:1], off offset:940
	v_mul_hi_i32_i24_e32 v17, 24, v2
	v_mul_i32_i24_e32 v2, 24, v2
	v_mov_b32_e32 v3, s15
	v_add_co_u32_e32 v75, vcc, s14, v2
	v_addc_co_u32_e32 v76, vcc, v3, v17, vcc
	global_load_dwordx4 v[0:3], v[75:76], off offset:924
	global_load_dwordx2 v[17:18], v[75:76], off offset:940
	s_waitcnt lgkmcnt(3)
	v_lshrrev_b32_e32 v75, 16, v30
	s_waitcnt lgkmcnt(2)
	v_lshrrev_b32_e32 v76, 16, v31
	;; [unrolled: 2-line block ×4, first 2 shown]
	v_lshrrev_b32_e32 v77, 16, v32
	v_lshrrev_b32_e32 v78, 16, v33
	s_movk_i32 s12, 0x2b26
	s_movk_i32 s14, 0x3b00
	s_mov_b32 s15, 0xbcab
	s_movk_i32 s16, 0x39e0
	s_mov_b32 s17, 0xb9e0
	;; [unrolled: 2-line block ×3, first 2 shown]
	s_movk_i32 s20, 0x370e
	s_waitcnt vmcnt(3)
	v_mul_f16_sdwa v81, v75, v12 dst_sel:DWORD dst_unused:UNUSED_PAD src0_sel:DWORD src1_sel:WORD_1
	v_mul_f16_sdwa v82, v30, v12 dst_sel:DWORD dst_unused:UNUSED_PAD src0_sel:DWORD src1_sel:WORD_1
	;; [unrolled: 1-line block ×4, first 2 shown]
	s_waitcnt vmcnt(2)
	v_mul_f16_sdwa v89, v79, v21 dst_sel:DWORD dst_unused:UNUSED_PAD src0_sel:DWORD src1_sel:WORD_1
	v_mul_f16_sdwa v90, v34, v21 dst_sel:DWORD dst_unused:UNUSED_PAD src0_sel:DWORD src1_sel:WORD_1
	;; [unrolled: 1-line block ×8, first 2 shown]
	v_fma_f16 v30, v30, v12, -v81
	v_fma_f16 v75, v75, v12, v82
	v_fma_f16 v31, v31, v13, -v83
	v_fma_f16 v76, v76, v13, v84
	v_fma_f16 v34, v34, v21, -v89
	v_fma_f16 v79, v79, v21, v90
	v_fma_f16 v71, v71, v22, -v91
	v_fma_f16 v80, v80, v22, v92
	v_fma_f16 v32, v32, v14, -v85
	v_fma_f16 v77, v77, v14, v86
	v_fma_f16 v33, v33, v15, -v87
	v_fma_f16 v78, v78, v15, v88
	v_add_f16_e32 v81, v30, v71
	v_add_f16_e32 v82, v75, v80
	v_sub_f16_e32 v30, v30, v71
	v_sub_f16_e32 v71, v75, v80
	v_add_f16_e32 v75, v31, v34
	v_add_f16_e32 v80, v76, v79
	v_sub_f16_e32 v31, v31, v34
	v_sub_f16_e32 v34, v76, v79
	;; [unrolled: 4-line block ×4, first 2 shown]
	v_sub_f16_e32 v81, v81, v76
	v_sub_f16_e32 v82, v82, v79
	;; [unrolled: 1-line block ×4, first 2 shown]
	v_add_f16_e32 v85, v32, v31
	v_add_f16_e32 v86, v33, v34
	v_sub_f16_e32 v87, v32, v31
	v_sub_f16_e32 v88, v33, v34
	;; [unrolled: 1-line block ×4, first 2 shown]
	v_add_f16_e32 v76, v76, v77
	v_add_f16_e32 v77, v79, v78
	v_sub_f16_e32 v32, v30, v32
	v_sub_f16_e32 v33, v71, v33
	v_add_f16_e32 v30, v85, v30
	v_add_f16_e32 v71, v86, v71
	;; [unrolled: 1-line block ×3, first 2 shown]
	v_add_f16_sdwa v79, v29, v77 dst_sel:DWORD dst_unused:UNUSED_PAD src0_sel:WORD_1 src1_sel:DWORD
	v_mul_f16_e32 v29, 0x3a52, v81
	v_mul_f16_e32 v81, 0x3a52, v82
	;; [unrolled: 1-line block ×8, first 2 shown]
	s_waitcnt vmcnt(1)
	v_mul_f16_sdwa v93, v70, v0 dst_sel:DWORD dst_unused:UNUSED_PAD src0_sel:DWORD src1_sel:WORD_1
	v_mul_f16_sdwa v94, v26, v0 dst_sel:DWORD dst_unused:UNUSED_PAD src0_sel:DWORD src1_sel:WORD_1
	;; [unrolled: 1-line block ×6, first 2 shown]
	s_waitcnt vmcnt(0)
	v_mul_f16_sdwa v101, v73, v17 dst_sel:DWORD dst_unused:UNUSED_PAD src0_sel:DWORD src1_sel:WORD_1
	v_mul_f16_sdwa v102, v24, v17 dst_sel:DWORD dst_unused:UNUSED_PAD src0_sel:DWORD src1_sel:WORD_1
	;; [unrolled: 1-line block ×4, first 2 shown]
	v_fma_f16 v76, v76, s15, v78
	v_fma_f16 v77, v77, s15, v79
	;; [unrolled: 1-line block ×4, first 2 shown]
	v_fma_f16 v82, v83, s16, -v82
	v_fma_f16 v85, v84, s16, -v85
	;; [unrolled: 1-line block ×4, first 2 shown]
	v_fma_f16 v83, v32, s18, v86
	v_fma_f16 v84, v33, s18, v87
	v_fma_f16 v31, v31, s14, -v86
	v_fma_f16 v34, v34, s14, -v87
	;; [unrolled: 1-line block ×4, first 2 shown]
	v_mul_f16_sdwa v98, v28, v2 dst_sel:DWORD dst_unused:UNUSED_PAD src0_sel:DWORD src1_sel:WORD_1
	v_mul_f16_sdwa v100, v23, v3 dst_sel:DWORD dst_unused:UNUSED_PAD src0_sel:DWORD src1_sel:WORD_1
	v_fma_f16 v26, v26, v0, -v93
	v_fma_f16 v70, v70, v0, v94
	v_fma_f16 v27, v27, v1, -v95
	v_fma_f16 v67, v67, v1, v96
	v_fma_f16 v28, v28, v2, -v97
	v_fma_f16 v23, v23, v3, -v99
	v_fma_f16 v24, v24, v17, -v101
	v_fma_f16 v73, v73, v17, v102
	v_fma_f16 v72, v72, v18, -v103
	v_fma_f16 v74, v74, v18, v104
	v_add_f16_e32 v75, v75, v76
	v_add_f16_e32 v80, v80, v77
	;; [unrolled: 1-line block ×6, first 2 shown]
	v_fma_f16 v77, v30, s20, v83
	v_fma_f16 v31, v30, s20, v31
	;; [unrolled: 1-line block ×7, first 2 shown]
	v_add_f16_e32 v86, v32, v29
	v_sub_f16_e32 v87, v76, v30
	v_sub_f16_e32 v88, v82, v34
	v_add_f16_e32 v82, v34, v82
	v_sub_f16_e32 v90, v29, v32
	v_add_f16_e32 v76, v30, v76
	v_add_f16_e32 v29, v26, v72
	;; [unrolled: 1-line block ×3, first 2 shown]
	v_sub_f16_e32 v26, v26, v72
	v_add_f16_e32 v32, v27, v24
	v_add_f16_e32 v33, v67, v73
	v_sub_f16_e32 v24, v27, v24
	v_add_f16_e32 v34, v28, v23
	v_sub_f16_e32 v23, v23, v28
	v_fma_f16 v81, v71, s20, v84
	v_add_f16_e32 v89, v31, v85
	v_sub_f16_e32 v85, v85, v31
	v_sub_f16_e32 v31, v70, v74
	;; [unrolled: 1-line block ×3, first 2 shown]
	v_add_f16_e32 v67, v66, v64
	v_sub_f16_e32 v28, v64, v66
	v_add_f16_e32 v64, v32, v29
	v_add_f16_e32 v66, v33, v30
	;; [unrolled: 1-line block ×3, first 2 shown]
	v_sub_f16_e32 v74, v23, v24
	v_sub_f16_e32 v24, v24, v26
	v_add_f16_e32 v83, v81, v75
	v_sub_f16_e32 v84, v80, v77
	v_add_f16_e32 v77, v77, v80
	v_sub_f16_e32 v70, v32, v29
	v_sub_f16_e32 v71, v33, v30
	;; [unrolled: 1-line block ×6, first 2 shown]
	v_add_f16_e32 v73, v28, v27
	v_sub_f16_e32 v80, v28, v27
	v_sub_f16_e32 v23, v26, v23
	;; [unrolled: 1-line block ×3, first 2 shown]
	v_add_f16_e32 v34, v34, v64
	v_add_f16_e32 v64, v67, v66
	;; [unrolled: 1-line block ×3, first 2 shown]
	v_mul_f16_e32 v72, 0xb846, v74
	v_mul_f16_e32 v74, 0x3b00, v24
	v_sub_f16_e32 v75, v75, v81
	v_sub_f16_e32 v28, v31, v28
	v_add_f16_e32 v67, v73, v31
	v_add_f16_e32 v25, v25, v34
	;; [unrolled: 1-line block ×3, first 2 shown]
	v_mul_f16_e32 v29, 0x3a52, v29
	v_mul_f16_e32 v30, 0x3a52, v30
	;; [unrolled: 1-line block ×6, first 2 shown]
	v_fma_f16 v81, v23, s18, v72
	v_fma_f16 v23, v23, s19, -v74
	v_pack_b32_f16 v74, v78, v79
	v_pack_b32_f16 v78, v83, v84
	v_fma_f16 v34, v34, s15, v25
	v_fma_f16 v64, v64, s15, v26
	v_fma_f16 v32, v32, s12, v29
	v_fma_f16 v33, v33, s12, v30
	v_fma_f16 v31, v70, s16, -v31
	v_fma_f16 v65, v71, s16, -v65
	;; [unrolled: 1-line block ×4, first 2 shown]
	v_fma_f16 v91, v28, s18, v73
	v_fma_f16 v24, v24, s14, -v72
	v_fma_f16 v72, v27, s14, -v73
	;; [unrolled: 1-line block ×3, first 2 shown]
	ds_write2_b32 v35, v74, v78 offset1:242
	v_pack_b32_f16 v74, v86, v87
	v_pack_b32_f16 v78, v88, v89
	v_add_f16_e32 v27, v32, v34
	v_add_f16_e32 v28, v33, v64
	;; [unrolled: 1-line block ×6, first 2 shown]
	v_fma_f16 v31, v66, s20, v81
	v_fma_f16 v32, v67, s20, v91
	;; [unrolled: 1-line block ×6, first 2 shown]
	ds_write2_b32 v68, v74, v78 offset0:4 offset1:246
	v_pack_b32_f16 v68, v82, v85
	v_pack_b32_f16 v74, v90, v76
	v_add_f16_e32 v23, v71, v29
	v_sub_f16_e32 v67, v33, v70
	v_sub_f16_e32 v24, v30, v73
	v_add_f16_e32 v64, v72, v34
	v_sub_f16_e32 v65, v27, v32
	v_add_f16_e32 v66, v31, v28
	ds_write2_b32 v69, v68, v74 offset0:8 offset1:250
	v_pack_b32_f16 v68, v75, v77
	ds_write_b32 v35, v68 offset:5808
	s_and_saveexec_b64 s[14:15], s[4:5]
	s_cbranch_execz .LBB0_9
; %bb.8:
	v_sub_f16_e32 v28, v28, v31
	v_add_f16_e32 v27, v32, v27
	s_mov_b32 s12, 0x5040100
	v_add_f16_e32 v33, v70, v33
	v_sub_f16_e32 v29, v29, v71
	v_sub_f16_e32 v34, v34, v72
	v_add_f16_e32 v30, v73, v30
	v_perm_b32 v25, v26, v25, s12
	v_pack_b32_f16 v26, v27, v28
	v_add_u32_e32 v27, 0x240, v35
	ds_write2_b32 v27, v25, v26 offset0:10 offset1:252
	v_pack_b32_f16 v25, v30, v34
	v_pack_b32_f16 v26, v29, v33
	v_add_u32_e32 v27, 0x9e0, v35
	ds_write2_b32 v27, v25, v26 offset0:6 offset1:248
	v_perm_b32 v25, v67, v23, s12
	v_perm_b32 v26, v64, v24, s12
	v_add_u32_e32 v27, 0x1180, v35
	ds_write2_b32 v27, v25, v26 offset0:2 offset1:244
	v_perm_b32 v25, v66, v65, s12
	ds_write_b32 v35, v25 offset:6424
.LBB0_9:
	s_or_b64 exec, exec, s[14:15]
	v_mov_b32_e32 v25, s13
	v_addc_co_u32_e64 v29, vcc, 0, v25, s[0:1]
	v_add_co_u32_e32 v25, vcc, 0x1a78, v48
	s_mov_b64 s[0:1], vcc
	v_add_co_u32_e32 v26, vcc, 0x1000, v48
	v_addc_co_u32_e32 v27, vcc, 0, v29, vcc
	s_waitcnt lgkmcnt(0)
	s_barrier
	global_load_dword v30, v[26:27], off offset:2680
	v_addc_co_u32_e64 v26, vcc, 0, v29, s[0:1]
	global_load_dword v31, v[25:26], off offset:616
	s_movk_i32 s0, 0x2000
	global_load_dword v33, v[25:26], off offset:1232
	global_load_dword v34, v[25:26], off offset:1848
	;; [unrolled: 1-line block ×3, first 2 shown]
	v_add_co_u32_e32 v27, vcc, s0, v48
	v_addc_co_u32_e32 v28, vcc, 0, v29, vcc
	global_load_dword v69, v[25:26], off offset:3080
	global_load_dword v70, v[27:28], off offset:2896
	;; [unrolled: 1-line block ×4, first 2 shown]
	s_movk_i32 s0, 0x3000
	v_add_co_u32_e32 v25, vcc, s0, v48
	v_addc_co_u32_e32 v26, vcc, 0, v29, vcc
	global_load_dword v48, v[25:26], off offset:32
	global_load_dword v73, v[25:26], off offset:648
	ds_read2_b32 v[25:26], v35 offset1:154
	v_add_u32_e32 v74, 0x400, v35
	v_add_u32_e32 v75, 0x900, v35
	;; [unrolled: 1-line block ×3, first 2 shown]
	s_mov_b32 s16, 0xb853
	s_waitcnt lgkmcnt(0)
	v_lshrrev_b32_e32 v27, 16, v25
	v_lshrrev_b32_e32 v28, 16, v26
	s_movk_i32 s14, 0x3abb
	s_mov_b32 s17, 0xbb47
	s_mov_b32 s0, 0xffff
	s_movk_i32 s1, 0x36a6
	s_mov_b32 s19, 0xba0c
	s_mov_b32 s20, 0xb93d
	;; [unrolled: 3-line block ×3, first 2 shown]
	s_movk_i32 s22, 0x3482
	s_movk_i32 s21, 0x3a0c
	s_mov_b32 s23, 0xbbad
	s_movk_i32 s18, 0x3beb
	s_mov_b32 s24, 0xb482
	s_movk_i32 s25, 0x3853
	s_waitcnt vmcnt(10)
	v_mul_f16_sdwa v29, v27, v30 dst_sel:DWORD dst_unused:UNUSED_PAD src0_sel:DWORD src1_sel:WORD_1
	v_mul_f16_sdwa v32, v25, v30 dst_sel:DWORD dst_unused:UNUSED_PAD src0_sel:DWORD src1_sel:WORD_1
	v_fma_f16 v25, v25, v30, -v29
	s_waitcnt vmcnt(9)
	v_mul_f16_sdwa v77, v28, v31 dst_sel:DWORD dst_unused:UNUSED_PAD src0_sel:DWORD src1_sel:WORD_1
	v_mul_f16_sdwa v78, v26, v31 dst_sel:DWORD dst_unused:UNUSED_PAD src0_sel:DWORD src1_sel:WORD_1
	v_fma_f16 v27, v27, v30, v32
	v_fma_f16 v26, v26, v31, -v77
	v_fma_f16 v28, v28, v31, v78
	v_pack_b32_f16 v25, v25, v27
	v_pack_b32_f16 v26, v26, v28
	ds_write2_b32 v35, v25, v26 offset1:154
	ds_read2_b32 v[25:26], v74 offset0:52 offset1:206
	v_add_u32_e32 v77, 0x1200, v35
	ds_read2_b32 v[27:28], v75 offset0:40 offset1:194
	ds_read2_b32 v[29:30], v76 offset0:28 offset1:182
	;; [unrolled: 1-line block ×3, first 2 shown]
	s_waitcnt lgkmcnt(3)
	v_lshrrev_b32_e32 v78, 16, v25
	s_waitcnt vmcnt(8)
	v_mul_f16_sdwa v79, v25, v33 dst_sel:DWORD dst_unused:UNUSED_PAD src0_sel:DWORD src1_sel:WORD_1
	v_lshrrev_b32_e32 v80, 16, v26
	s_waitcnt vmcnt(7)
	v_mul_f16_sdwa v81, v26, v34 dst_sel:DWORD dst_unused:UNUSED_PAD src0_sel:DWORD src1_sel:WORD_1
	s_waitcnt lgkmcnt(2)
	v_lshrrev_b32_e32 v82, 16, v27
	s_waitcnt vmcnt(6)
	v_mul_f16_sdwa v83, v27, v68 dst_sel:DWORD dst_unused:UNUSED_PAD src0_sel:DWORD src1_sel:WORD_1
	v_lshrrev_b32_e32 v84, 16, v28
	s_waitcnt vmcnt(5)
	v_mul_f16_sdwa v85, v28, v69 dst_sel:DWORD dst_unused:UNUSED_PAD src0_sel:DWORD src1_sel:WORD_1
	s_waitcnt lgkmcnt(1)
	v_lshrrev_b32_e32 v86, 16, v29
	s_waitcnt vmcnt(3)
	v_mul_f16_sdwa v87, v29, v71 dst_sel:DWORD dst_unused:UNUSED_PAD src0_sel:DWORD src1_sel:WORD_1
	v_lshrrev_b32_e32 v88, 16, v30
	v_mul_f16_sdwa v90, v78, v33 dst_sel:DWORD dst_unused:UNUSED_PAD src0_sel:DWORD src1_sel:WORD_1
	v_fma_f16 v78, v78, v33, v79
	v_mul_f16_sdwa v79, v80, v34 dst_sel:DWORD dst_unused:UNUSED_PAD src0_sel:DWORD src1_sel:WORD_1
	v_mul_f16_sdwa v89, v30, v70 dst_sel:DWORD dst_unused:UNUSED_PAD src0_sel:DWORD src1_sel:WORD_1
	v_fma_f16 v80, v80, v34, v81
	v_mul_f16_sdwa v81, v82, v68 dst_sel:DWORD dst_unused:UNUSED_PAD src0_sel:DWORD src1_sel:WORD_1
	v_fma_f16 v82, v82, v68, v83
	;; [unrolled: 2-line block ×4, first 2 shown]
	v_mul_f16_sdwa v87, v88, v70 dst_sel:DWORD dst_unused:UNUSED_PAD src0_sel:DWORD src1_sel:WORD_1
	v_fma_f16 v25, v25, v33, -v90
	v_fma_f16 v26, v26, v34, -v79
	v_fma_f16 v88, v88, v70, v89
	v_fma_f16 v27, v27, v68, -v81
	v_fma_f16 v28, v28, v69, -v83
	;; [unrolled: 1-line block ×4, first 2 shown]
	v_pack_b32_f16 v25, v25, v78
	v_pack_b32_f16 v26, v26, v80
	v_pack_b32_f16 v27, v27, v82
	v_pack_b32_f16 v28, v28, v84
	v_pack_b32_f16 v29, v29, v86
	v_pack_b32_f16 v30, v30, v88
	ds_write2_b32 v74, v25, v26 offset0:52 offset1:206
	ds_write2_b32 v75, v27, v28 offset0:40 offset1:194
	;; [unrolled: 1-line block ×3, first 2 shown]
	s_waitcnt lgkmcnt(3)
	v_lshrrev_b32_e32 v25, 16, v31
	s_waitcnt vmcnt(2)
	v_mul_f16_sdwa v26, v25, v72 dst_sel:DWORD dst_unused:UNUSED_PAD src0_sel:DWORD src1_sel:WORD_1
	v_mul_f16_sdwa v27, v31, v72 dst_sel:DWORD dst_unused:UNUSED_PAD src0_sel:DWORD src1_sel:WORD_1
	v_fma_f16 v26, v31, v72, -v26
	v_fma_f16 v25, v25, v72, v27
	ds_read_b32 v28, v35 offset:6160
	v_pack_b32_f16 v25, v26, v25
	v_lshrrev_b32_e32 v26, 16, v32
	s_waitcnt vmcnt(1)
	v_mul_f16_sdwa v27, v26, v48 dst_sel:DWORD dst_unused:UNUSED_PAD src0_sel:DWORD src1_sel:WORD_1
	v_mul_f16_sdwa v29, v32, v48 dst_sel:DWORD dst_unused:UNUSED_PAD src0_sel:DWORD src1_sel:WORD_1
	v_fma_f16 v27, v32, v48, -v27
	v_fma_f16 v26, v26, v48, v29
	v_pack_b32_f16 v26, v27, v26
	ds_write2_b32 v77, v25, v26 offset0:80 offset1:234
	s_waitcnt lgkmcnt(1)
	v_lshrrev_b32_e32 v25, 16, v28
	s_waitcnt vmcnt(0)
	v_mul_f16_sdwa v26, v25, v73 dst_sel:DWORD dst_unused:UNUSED_PAD src0_sel:DWORD src1_sel:WORD_1
	v_mul_f16_sdwa v27, v28, v73 dst_sel:DWORD dst_unused:UNUSED_PAD src0_sel:DWORD src1_sel:WORD_1
	v_fma_f16 v26, v28, v73, -v26
	v_fma_f16 v25, v25, v73, v27
	v_pack_b32_f16 v25, v26, v25
	ds_write_b32 v35, v25 offset:6160
	s_waitcnt lgkmcnt(0)
	s_barrier
	ds_read2_b32 v[25:26], v35 offset1:154
	ds_read2_b32 v[27:28], v74 offset0:52 offset1:206
	ds_read2_b32 v[29:30], v75 offset0:40 offset1:194
	;; [unrolled: 1-line block ×4, first 2 shown]
	ds_read_b32 v48, v35 offset:6160
	s_waitcnt lgkmcnt(5)
	v_pk_add_f16 v68, v25, v26
	s_waitcnt lgkmcnt(4)
	v_pk_add_f16 v68, v68, v27
	v_pk_add_f16 v68, v68, v28
	s_waitcnt lgkmcnt(3)
	v_pk_add_f16 v68, v68, v29
	;; [unrolled: 3-line block ×5, first 2 shown]
	v_pk_add_f16 v26, v26, v48 neg_lo:[0,1] neg_hi:[0,1]
	v_pk_add_f16 v68, v68, v48
	v_pk_mul_f16 v48, v26, s16 op_sel_hi:[1,0]
	v_pk_add_f16 v85, v34, v27
	v_pk_add_f16 v27, v27, v34 neg_lo:[0,1] neg_hi:[0,1]
	v_pk_fma_f16 v70, v69, s14, v48 op_sel:[0,0,1] op_sel_hi:[1,0,0]
	v_pk_fma_f16 v48, v69, s14, v48 op_sel:[0,0,1] op_sel_hi:[1,0,0] neg_lo:[0,0,1] neg_hi:[0,0,1]
	v_pk_mul_f16 v34, v27, s17 op_sel_hi:[1,0]
	v_bfi_b32 v71, s0, v70, v48
	v_pk_fma_f16 v86, v85, s1, v34 op_sel:[0,0,1] op_sel_hi:[1,0,0]
	v_pk_fma_f16 v34, v85, s1, v34 op_sel:[0,0,1] op_sel_hi:[1,0,0] neg_lo:[0,0,1] neg_hi:[0,0,1]
	v_pk_add_f16 v71, v25, v71
	v_mul_f16_sdwa v72, v26, s17 dst_sel:DWORD dst_unused:UNUSED_PAD src0_sel:WORD_1 src1_sel:DWORD
	v_bfi_b32 v87, s0, v86, v34
	v_fma_f16 v73, v69, s1, v72
	v_pk_add_f16 v71, v87, v71
	v_mul_f16_sdwa v87, v27, s19 dst_sel:DWORD dst_unused:UNUSED_PAD src0_sel:WORD_1 src1_sel:DWORD
	v_add_f16_e32 v73, v25, v73
	v_mul_f16_sdwa v75, v69, s1 dst_sel:DWORD dst_unused:UNUSED_PAD src0_sel:WORD_1 src1_sel:DWORD
	v_fma_f16 v72, v69, s1, -v72
	v_fma_f16 v88, v85, s20, v87
	v_fma_f16 v76, v26, s12, v75
	v_add_f16_e32 v72, v25, v72
	v_fma_f16 v75, v26, s17, v75
	v_add_f16_e32 v73, v88, v73
	v_mul_f16_sdwa v88, v85, s20 dst_sel:DWORD dst_unused:UNUSED_PAD src0_sel:WORD_1 src1_sel:DWORD
	v_fma_f16 v87, v85, s20, -v87
	v_add_f16_sdwa v75, v25, v75 dst_sel:DWORD dst_unused:UNUSED_PAD src0_sel:WORD_1 src1_sel:DWORD
	v_mul_f16_sdwa v77, v26, s13 dst_sel:DWORD dst_unused:UNUSED_PAD src0_sel:WORD_1 src1_sel:DWORD
	v_add_f16_e32 v72, v87, v72
	v_fma_f16 v87, v27, s19, v88
	v_fma_f16 v78, v69, s15, v77
	v_add_f16_e32 v75, v87, v75
	v_mul_f16_sdwa v87, v27, s22 dst_sel:DWORD dst_unused:UNUSED_PAD src0_sel:WORD_1 src1_sel:DWORD
	v_add_f16_e32 v78, v25, v78
	v_mul_f16_sdwa v79, v69, s15 dst_sel:DWORD dst_unused:UNUSED_PAD src0_sel:WORD_1 src1_sel:DWORD
	v_fma_f16 v77, v69, s15, -v77
	v_fma_f16 v89, v27, s21, v88
	v_fma_f16 v88, v85, s23, v87
	;; [unrolled: 1-line block ×3, first 2 shown]
	v_add_f16_e32 v77, v25, v77
	v_fma_f16 v79, v26, s13, v79
	v_add_f16_e32 v78, v88, v78
	v_mul_f16_sdwa v88, v85, s23 dst_sel:DWORD dst_unused:UNUSED_PAD src0_sel:WORD_1 src1_sel:DWORD
	v_fma_f16 v87, v85, s23, -v87
	v_add_f16_sdwa v79, v25, v79 dst_sel:DWORD dst_unused:UNUSED_PAD src0_sel:WORD_1 src1_sel:DWORD
	v_mul_f16_sdwa v81, v26, s19 dst_sel:DWORD dst_unused:UNUSED_PAD src0_sel:WORD_1 src1_sel:DWORD
	v_add_f16_e32 v77, v87, v77
	v_fma_f16 v87, v27, s22, v88
	v_add_f16_sdwa v76, v25, v76 dst_sel:DWORD dst_unused:UNUSED_PAD src0_sel:WORD_1 src1_sel:DWORD
	v_fma_f16 v82, v69, s20, v81
	v_add_f16_e32 v79, v87, v79
	v_mul_f16_sdwa v87, v27, s18 dst_sel:DWORD dst_unused:UNUSED_PAD src0_sel:WORD_1 src1_sel:DWORD
	v_add_f16_e32 v82, v25, v82
	v_mul_f16_sdwa v83, v69, s20 dst_sel:DWORD dst_unused:UNUSED_PAD src0_sel:WORD_1 src1_sel:DWORD
	v_fma_f16 v81, v69, s20, -v81
	v_add_f16_e32 v76, v89, v76
	v_fma_f16 v89, v27, s24, v88
	v_fma_f16 v88, v85, s15, v87
	v_fma_f16 v84, v26, s21, v83
	v_add_f16_e32 v81, v25, v81
	v_fma_f16 v83, v26, s19, v83
	v_add_f16_e32 v82, v88, v82
	v_mul_f16_sdwa v88, v85, s15 dst_sel:DWORD dst_unused:UNUSED_PAD src0_sel:WORD_1 src1_sel:DWORD
	v_fma_f16 v87, v85, s15, -v87
	v_add_f16_sdwa v83, v25, v83 dst_sel:DWORD dst_unused:UNUSED_PAD src0_sel:WORD_1 src1_sel:DWORD
	v_add_f16_e32 v81, v87, v81
	v_fma_f16 v87, v27, s18, v88
	v_add_f16_e32 v83, v87, v83
	v_pk_add_f16 v87, v33, v28
	v_pk_add_f16 v28, v28, v33 neg_lo:[0,1] neg_hi:[0,1]
	v_add_f16_sdwa v80, v25, v80 dst_sel:DWORD dst_unused:UNUSED_PAD src0_sel:WORD_1 src1_sel:DWORD
	v_pk_mul_f16 v33, v28, s13 op_sel_hi:[1,0]
	v_add_f16_sdwa v84, v25, v84 dst_sel:DWORD dst_unused:UNUSED_PAD src0_sel:WORD_1 src1_sel:DWORD
	v_add_f16_e32 v80, v89, v80
	v_fma_f16 v89, v27, s13, v88
	v_pk_fma_f16 v88, v87, s15, v33 op_sel:[0,0,1] op_sel_hi:[1,0,0]
	v_pk_fma_f16 v33, v87, s15, v33 op_sel:[0,0,1] op_sel_hi:[1,0,0] neg_lo:[0,0,1] neg_hi:[0,0,1]
	v_add_f16_e32 v84, v89, v84
	v_bfi_b32 v89, s0, v88, v33
	v_pk_add_f16 v71, v89, v71
	v_mul_f16_sdwa v89, v28, s22 dst_sel:DWORD dst_unused:UNUSED_PAD src0_sel:WORD_1 src1_sel:DWORD
	v_fma_f16 v90, v87, s23, v89
	v_add_f16_e32 v73, v90, v73
	v_mul_f16_sdwa v90, v87, s23 dst_sel:DWORD dst_unused:UNUSED_PAD src0_sel:WORD_1 src1_sel:DWORD
	v_fma_f16 v89, v87, s23, -v89
	v_add_f16_e32 v72, v89, v72
	v_fma_f16 v89, v28, s22, v90
	v_add_f16_e32 v75, v89, v75
	v_mul_f16_sdwa v89, v28, s12 dst_sel:DWORD dst_unused:UNUSED_PAD src0_sel:WORD_1 src1_sel:DWORD
	v_fma_f16 v91, v28, s24, v90
	v_fma_f16 v90, v87, s1, v89
	v_add_f16_e32 v78, v90, v78
	v_mul_f16_sdwa v90, v87, s1 dst_sel:DWORD dst_unused:UNUSED_PAD src0_sel:WORD_1 src1_sel:DWORD
	v_fma_f16 v89, v87, s1, -v89
	v_add_f16_e32 v77, v89, v77
	v_fma_f16 v89, v28, s12, v90
	v_add_f16_e32 v79, v89, v79
	v_mul_f16_sdwa v89, v28, s16 dst_sel:DWORD dst_unused:UNUSED_PAD src0_sel:WORD_1 src1_sel:DWORD
	v_add_f16_e32 v76, v91, v76
	v_fma_f16 v91, v28, s17, v90
	v_fma_f16 v90, v87, s14, v89
	v_add_f16_e32 v82, v90, v82
	v_mul_f16_sdwa v90, v87, s14 dst_sel:DWORD dst_unused:UNUSED_PAD src0_sel:WORD_1 src1_sel:DWORD
	v_fma_f16 v89, v87, s14, -v89
	v_add_f16_e32 v81, v89, v81
	v_fma_f16 v89, v28, s16, v90
	v_add_f16_e32 v83, v89, v83
	v_pk_add_f16 v89, v32, v29
	v_pk_add_f16 v29, v29, v32 neg_lo:[0,1] neg_hi:[0,1]
	v_pk_mul_f16 v32, v29, s19 op_sel_hi:[1,0]
	v_add_f16_e32 v80, v91, v80
	v_fma_f16 v91, v28, s25, v90
	v_pk_fma_f16 v90, v89, s20, v32 op_sel:[0,0,1] op_sel_hi:[1,0,0]
	v_pk_fma_f16 v32, v89, s20, v32 op_sel:[0,0,1] op_sel_hi:[1,0,0] neg_lo:[0,0,1] neg_hi:[0,0,1]
	v_add_f16_e32 v84, v91, v84
	v_bfi_b32 v91, s0, v90, v32
	v_pk_add_f16 v71, v91, v71
	v_mul_f16_sdwa v91, v29, s18 dst_sel:DWORD dst_unused:UNUSED_PAD src0_sel:WORD_1 src1_sel:DWORD
	v_fma_f16 v92, v89, s15, v91
	v_add_f16_e32 v73, v92, v73
	v_mul_f16_sdwa v92, v89, s15 dst_sel:DWORD dst_unused:UNUSED_PAD src0_sel:WORD_1 src1_sel:DWORD
	v_fma_f16 v91, v89, s15, -v91
	v_add_f16_e32 v72, v91, v72
	v_fma_f16 v91, v29, s18, v92
	v_add_f16_e32 v75, v91, v75
	v_mul_f16_sdwa v91, v29, s16 dst_sel:DWORD dst_unused:UNUSED_PAD src0_sel:WORD_1 src1_sel:DWORD
	v_fma_f16 v93, v29, s13, v92
	v_fma_f16 v92, v89, s14, v91
	v_add_f16_e32 v78, v92, v78
	v_mul_f16_sdwa v92, v89, s14 dst_sel:DWORD dst_unused:UNUSED_PAD src0_sel:WORD_1 src1_sel:DWORD
	v_fma_f16 v91, v89, s14, -v91
	v_add_f16_e32 v77, v91, v77
	v_fma_f16 v91, v29, s16, v92
	v_add_f16_e32 v79, v91, v79
	v_mul_f16_sdwa v91, v29, s24 dst_sel:DWORD dst_unused:UNUSED_PAD src0_sel:WORD_1 src1_sel:DWORD
	v_add_f16_e32 v76, v93, v76
	v_fma_f16 v93, v29, s25, v92
	v_fma_f16 v92, v89, s23, v91
	v_add_f16_e32 v82, v92, v82
	v_mul_f16_sdwa v92, v89, s23 dst_sel:DWORD dst_unused:UNUSED_PAD src0_sel:WORD_1 src1_sel:DWORD
	v_fma_f16 v91, v89, s23, -v91
	v_add_f16_e32 v81, v91, v81
	v_fma_f16 v91, v29, s24, v92
	v_add_f16_e32 v83, v91, v83
	v_pk_add_f16 v91, v31, v30
	v_pk_add_f16 v30, v30, v31 neg_lo:[0,1] neg_hi:[0,1]
	v_pk_mul_f16 v31, v30, s24 op_sel_hi:[1,0]
	v_add_f16_e32 v80, v93, v80
	v_fma_f16 v93, v29, s22, v92
	v_pk_fma_f16 v92, v91, s23, v31 op_sel:[0,0,1] op_sel_hi:[1,0,0]
	v_pk_fma_f16 v31, v91, s23, v31 op_sel:[0,0,1] op_sel_hi:[1,0,0] neg_lo:[0,0,1] neg_hi:[0,0,1]
	v_add_f16_e32 v84, v93, v84
	v_bfi_b32 v93, s0, v92, v31
	v_pk_add_f16 v71, v93, v71
	v_mul_f16_sdwa v93, v30, s25 dst_sel:DWORD dst_unused:UNUSED_PAD src0_sel:WORD_1 src1_sel:DWORD
	v_fma_f16 v94, v91, s14, v93
	v_add_f16_e32 v73, v94, v73
	v_mul_f16_sdwa v94, v91, s14 dst_sel:DWORD dst_unused:UNUSED_PAD src0_sel:WORD_1 src1_sel:DWORD
	v_fma_f16 v93, v91, s14, -v93
	v_add_f16_e32 v72, v93, v72
	v_fma_f16 v93, v30, s25, v94
	v_add_f16_e32 v75, v93, v75
	v_mul_f16_sdwa v93, v30, s19 dst_sel:DWORD dst_unused:UNUSED_PAD src0_sel:WORD_1 src1_sel:DWORD
	v_fma_f16 v95, v30, s16, v94
	v_fma_f16 v94, v91, s20, v93
	v_add_f16_e32 v78, v94, v78
	v_mul_f16_sdwa v94, v91, s20 dst_sel:DWORD dst_unused:UNUSED_PAD src0_sel:WORD_1 src1_sel:DWORD
	v_fma_f16 v93, v91, s20, -v93
	v_add_f16_e32 v77, v93, v77
	v_fma_f16 v93, v30, s19, v94
	v_add_f16_e32 v79, v93, v79
	v_mul_f16_sdwa v93, v30, s12 dst_sel:DWORD dst_unused:UNUSED_PAD src0_sel:WORD_1 src1_sel:DWORD
	v_add_f16_e32 v76, v95, v76
	v_fma_f16 v95, v30, s21, v94
	v_fma_f16 v94, v91, s1, v93
	v_add_f16_e32 v82, v94, v82
	v_mul_f16_sdwa v94, v91, s1 dst_sel:DWORD dst_unused:UNUSED_PAD src0_sel:WORD_1 src1_sel:DWORD
	v_add_f16_e32 v80, v95, v80
	v_fma_f16 v95, v30, s17, v94
	s_barrier
	v_add_f16_e32 v84, v95, v84
	ds_write2_b32 v49, v68, v71 offset1:1
	v_pack_b32_f16 v68, v78, v80
	v_pack_b32_f16 v71, v73, v76
	ds_write2_b32 v49, v71, v68 offset0:2 offset1:3
	v_pack_b32_f16 v68, v82, v84
	ds_write_b32 v49, v68 offset:16
	v_pk_mul_f16 v68, v69, s23 op_sel_hi:[1,0]
	v_pk_fma_f16 v69, v26, s24, v68 op_sel:[0,0,1] op_sel_hi:[1,0,0]
	v_pk_fma_f16 v26, v26, s24, v68 op_sel:[0,0,1] op_sel_hi:[1,0,0] neg_lo:[1,0,0] neg_hi:[1,0,0]
	v_alignbit_b32 v68, s0, v25, 16
	v_alignbit_b32 v71, s0, v69, 16
	v_pk_add_f16 v68, v68, v69
	v_pk_mul_f16 v69, v85, s14 op_sel_hi:[1,0]
	v_pk_add_f16 v26, v25, v26 op_sel:[1,0] op_sel_hi:[0,1]
	v_pk_fma_f16 v73, v27, s25, v69 op_sel:[0,0,1] op_sel_hi:[1,0,0]
	v_pk_fma_f16 v27, v27, s25, v69 op_sel:[0,0,1] op_sel_hi:[1,0,0] neg_lo:[1,0,0] neg_hi:[1,0,0]
	v_pk_add_f16 v26, v27, v26
	v_pk_add_f16 v27, v73, v68
	v_pk_mul_f16 v68, v87, s20 op_sel_hi:[1,0]
	v_pk_fma_f16 v69, v28, s19, v68 op_sel:[0,0,1] op_sel_hi:[1,0,0]
	v_pk_fma_f16 v28, v28, s19, v68 op_sel:[0,0,1] op_sel_hi:[1,0,0] neg_lo:[1,0,0] neg_hi:[1,0,0]
	v_pk_add_f16 v26, v28, v26
	v_pk_mul_f16 v28, v89, s1 op_sel_hi:[1,0]
	v_pk_add_f16 v71, v25, v71
	v_alignbit_b32 v76, s0, v73, 16
	v_pk_fma_f16 v68, v29, s12, v28 op_sel:[0,0,1] op_sel_hi:[1,0,0]
	v_pk_fma_f16 v28, v29, s12, v28 op_sel:[0,0,1] op_sel_hi:[1,0,0] neg_lo:[1,0,0] neg_hi:[1,0,0]
	v_pk_add_f16 v71, v76, v71
	v_alignbit_b32 v73, s0, v69, 16
	v_pk_add_f16 v26, v28, v26
	v_pk_mul_f16 v28, v91, s15 op_sel_hi:[1,0]
	v_pk_add_f16 v71, v73, v71
	v_pk_add_f16 v27, v69, v27
	v_alignbit_b32 v69, s0, v68, 16
	v_pk_fma_f16 v29, v30, s13, v28 op_sel:[0,0,1] op_sel_hi:[1,0,0]
	v_fma_f16 v93, v91, s1, -v93
	v_pk_add_f16 v69, v69, v71
	v_pk_add_f16 v27, v68, v27
	v_alignbit_b32 v68, s0, v29, 16
	v_pk_fma_f16 v28, v30, s13, v28 op_sel:[0,0,1] op_sel_hi:[1,0,0] neg_lo:[1,0,0] neg_hi:[1,0,0]
	v_add_f16_e32 v81, v93, v81
	v_fma_f16 v93, v30, s12, v94
	v_pk_add_f16 v68, v68, v69
	v_pk_add_f16 v26, v28, v26
	;; [unrolled: 1-line block ×3, first 2 shown]
	v_add_f16_e32 v83, v93, v83
	v_alignbit_b32 v27, v27, v26, 16
	v_pack_b32_f16 v26, v68, v26
	ds_write2_b32 v49, v26, v27 offset0:5 offset1:6
	v_pack_b32_f16 v26, v77, v79
	v_pack_b32_f16 v27, v81, v83
	ds_write2_b32 v49, v27, v26 offset0:7 offset1:8
	v_bfi_b32 v26, s0, v48, v70
	v_pk_add_f16 v25, v25, v26
	v_bfi_b32 v26, s0, v34, v86
	v_pk_add_f16 v25, v26, v25
	;; [unrolled: 2-line block ×5, first 2 shown]
	v_pack_b32_f16 v25, v72, v75
	ds_write2_b32 v49, v25, v48 offset0:9 offset1:10
	v_add_u32_e32 v25, 0x980, v35
	v_add_u32_e32 v29, 0xf00, v35
	;; [unrolled: 1-line block ×3, first 2 shown]
	s_waitcnt lgkmcnt(0)
	s_barrier
	ds_read2_b32 v[27:28], v35 offset1:154
	ds_read2_b32 v[25:26], v25 offset0:8 offset1:239
	ds_read2_b32 v[33:34], v29 offset0:41 offset1:195
	;; [unrolled: 1-line block ×4, first 2 shown]
	v_lshrrev_b32_e32 v49, 16, v48
	s_and_saveexec_b64 s[0:1], s[2:3]
	s_cbranch_execz .LBB0_11
; %bb.10:
	ds_read_b32 v48, v35 offset:3080
	ds_read_b32 v23, v35 offset:6468
	s_waitcnt lgkmcnt(1)
	v_lshrrev_b32_e32 v49, 16, v48
	s_waitcnt lgkmcnt(0)
	v_lshrrev_b32_e32 v67, 16, v23
.LBB0_11:
	s_or_b64 exec, exec, s[0:1]
	s_waitcnt lgkmcnt(3)
	v_lshrrev_b32_e32 v69, 16, v26
	v_mul_f16_sdwa v78, v50, v69 dst_sel:DWORD dst_unused:UNUSED_PAD src0_sel:WORD_1 src1_sel:DWORD
	s_waitcnt lgkmcnt(2)
	v_lshrrev_b32_e32 v71, 16, v33
	v_fma_f16 v78, v50, v26, v78
	v_mul_f16_sdwa v26, v50, v26 dst_sel:DWORD dst_unused:UNUSED_PAD src0_sel:WORD_1 src1_sel:DWORD
	v_fma_f16 v26, v50, v69, -v26
	v_mul_f16_sdwa v50, v53, v71 dst_sel:DWORD dst_unused:UNUSED_PAD src0_sel:WORD_1 src1_sel:DWORD
	v_lshrrev_b32_e32 v73, 16, v34
	v_fma_f16 v50, v53, v33, v50
	v_mul_f16_sdwa v33, v53, v33 dst_sel:DWORD dst_unused:UNUSED_PAD src0_sel:WORD_1 src1_sel:DWORD
	v_fma_f16 v33, v53, v71, -v33
	v_mul_f16_sdwa v53, v54, v73 dst_sel:DWORD dst_unused:UNUSED_PAD src0_sel:WORD_1 src1_sel:DWORD
	s_waitcnt lgkmcnt(0)
	v_lshrrev_b32_e32 v75, 16, v31
	v_fma_f16 v53, v54, v34, v53
	v_mul_f16_sdwa v34, v54, v34 dst_sel:DWORD dst_unused:UNUSED_PAD src0_sel:WORD_1 src1_sel:DWORD
	v_fma_f16 v34, v54, v73, -v34
	v_mul_f16_sdwa v54, v55, v75 dst_sel:DWORD dst_unused:UNUSED_PAD src0_sel:WORD_1 src1_sel:DWORD
	v_lshrrev_b32_e32 v77, 16, v32
	v_fma_f16 v54, v55, v31, v54
	v_mul_f16_sdwa v31, v55, v31 dst_sel:DWORD dst_unused:UNUSED_PAD src0_sel:WORD_1 src1_sel:DWORD
	v_fma_f16 v31, v55, v75, -v31
	v_mul_f16_sdwa v55, v56, v77 dst_sel:DWORD dst_unused:UNUSED_PAD src0_sel:WORD_1 src1_sel:DWORD
	v_fma_f16 v55, v56, v32, v55
	v_mul_f16_sdwa v32, v56, v32 dst_sel:DWORD dst_unused:UNUSED_PAD src0_sel:WORD_1 src1_sel:DWORD
	v_fma_f16 v32, v56, v77, -v32
	v_mul_f16_sdwa v56, v57, v67 dst_sel:DWORD dst_unused:UNUSED_PAD src0_sel:WORD_1 src1_sel:DWORD
	v_lshrrev_b32_e32 v68, 16, v27
	v_fma_f16 v56, v57, v23, v56
	v_mul_f16_sdwa v23, v57, v23 dst_sel:DWORD dst_unused:UNUSED_PAD src0_sel:WORD_1 src1_sel:DWORD
	v_lshrrev_b32_e32 v70, 16, v28
	v_fma_f16 v57, v57, v67, -v23
	v_sub_f16_e32 v67, v27, v78
	v_sub_f16_e32 v26, v68, v26
	v_lshrrev_b32_e32 v72, 16, v29
	v_fma_f16 v27, v27, 2.0, -v67
	v_fma_f16 v68, v68, 2.0, -v26
	v_sub_f16_e32 v50, v28, v50
	v_sub_f16_e32 v33, v70, v33
	v_lshrrev_b32_e32 v74, 16, v30
	v_fma_f16 v28, v28, 2.0, -v50
	v_fma_f16 v69, v70, 2.0, -v33
	v_sub_f16_e32 v53, v29, v53
	v_sub_f16_e32 v34, v72, v34
	v_pack_b32_f16 v27, v27, v68
	v_pack_b32_f16 v26, v67, v26
	v_lshrrev_b32_e32 v76, 16, v25
	v_fma_f16 v29, v29, 2.0, -v53
	v_fma_f16 v70, v72, 2.0, -v34
	v_sub_f16_e32 v54, v30, v54
	v_sub_f16_e32 v31, v74, v31
	s_barrier
	ds_write2_b32 v58, v27, v26 offset1:11
	v_pack_b32_f16 v26, v28, v69
	v_pack_b32_f16 v27, v50, v33
	v_fma_f16 v30, v30, 2.0, -v54
	v_fma_f16 v71, v74, 2.0, -v31
	v_sub_f16_e32 v55, v25, v55
	v_sub_f16_e32 v32, v76, v32
	ds_write2_b32 v59, v26, v27 offset1:11
	v_pack_b32_f16 v26, v29, v70
	v_pack_b32_f16 v27, v53, v34
	v_fma_f16 v72, v25, 2.0, -v55
	v_fma_f16 v73, v76, 2.0, -v32
	ds_write2_b32 v60, v26, v27 offset1:11
	v_pack_b32_f16 v26, v30, v71
	v_pack_b32_f16 v27, v54, v31
	v_sub_f16_e32 v23, v48, v56
	v_sub_f16_e32 v25, v49, v57
	ds_write2_b32 v61, v26, v27 offset1:11
	v_pack_b32_f16 v26, v72, v73
	v_pack_b32_f16 v27, v55, v32
	ds_write2_b32 v62, v26, v27 offset1:11
	s_and_saveexec_b64 s[0:1], s[2:3]
	s_cbranch_execz .LBB0_13
; %bb.12:
	v_fma_f16 v26, v48, 2.0, -v23
	v_fma_f16 v27, v49, 2.0, -v25
	v_mad_legacy_u16 v28, v51, 22, v52
	s_mov_b32 s2, 0x5040100
	v_lshlrev_b32_e32 v28, 2, v28
	v_pack_b32_f16 v26, v26, v27
	v_perm_b32 v27, v25, v23, s2
	ds_write2_b32 v28, v26, v27 offset1:11
.LBB0_13:
	s_or_b64 exec, exec, s[0:1]
	s_waitcnt lgkmcnt(0)
	s_barrier
	ds_read2_b32 v[26:27], v35 offset1:154
	v_add_u32_e32 v28, 0x400, v35
	ds_read2_b32 v[28:29], v28 offset0:52 offset1:206
	v_add_u32_e32 v30, 0x900, v35
	ds_read2_b32 v[30:31], v30 offset0:40 offset1:194
	s_waitcnt lgkmcnt(2)
	v_lshrrev_b32_e32 v34, 16, v27
	v_mul_f16_sdwa v60, v4, v34 dst_sel:DWORD dst_unused:UNUSED_PAD src0_sel:WORD_1 src1_sel:DWORD
	s_waitcnt lgkmcnt(1)
	v_lshrrev_b32_e32 v50, 16, v28
	v_fma_f16 v60, v4, v27, v60
	v_mul_f16_sdwa v27, v4, v27 dst_sel:DWORD dst_unused:UNUSED_PAD src0_sel:WORD_1 src1_sel:DWORD
	v_fma_f16 v4, v4, v34, -v27
	v_mul_f16_sdwa v27, v5, v50 dst_sel:DWORD dst_unused:UNUSED_PAD src0_sel:WORD_1 src1_sel:DWORD
	v_lshrrev_b32_e32 v51, 16, v29
	v_add_u32_e32 v32, 0xe00, v35
	v_fma_f16 v27, v5, v28, v27
	v_mul_f16_sdwa v28, v5, v28 dst_sel:DWORD dst_unused:UNUSED_PAD src0_sel:WORD_1 src1_sel:DWORD
	ds_read2_b32 v[32:33], v32 offset0:28 offset1:182
	v_fma_f16 v5, v5, v50, -v28
	v_mul_f16_sdwa v28, v6, v51 dst_sel:DWORD dst_unused:UNUSED_PAD src0_sel:WORD_1 src1_sel:DWORD
	s_waitcnt lgkmcnt(1)
	v_lshrrev_b32_e32 v52, 16, v30
	v_fma_f16 v28, v6, v29, v28
	v_mul_f16_sdwa v29, v6, v29 dst_sel:DWORD dst_unused:UNUSED_PAD src0_sel:WORD_1 src1_sel:DWORD
	v_fma_f16 v6, v6, v51, -v29
	v_mul_f16_sdwa v29, v7, v52 dst_sel:DWORD dst_unused:UNUSED_PAD src0_sel:WORD_1 src1_sel:DWORD
	v_add_u32_e32 v48, 0x1200, v35
	v_lshrrev_b32_e32 v53, 16, v31
	v_fma_f16 v29, v7, v30, v29
	v_mul_f16_sdwa v30, v7, v30 dst_sel:DWORD dst_unused:UNUSED_PAD src0_sel:WORD_1 src1_sel:DWORD
	ds_read2_b32 v[48:49], v48 offset0:80 offset1:234
	v_fma_f16 v7, v7, v52, -v30
	v_mul_f16_sdwa v30, v8, v53 dst_sel:DWORD dst_unused:UNUSED_PAD src0_sel:WORD_1 src1_sel:DWORD
	s_waitcnt lgkmcnt(1)
	v_lshrrev_b32_e32 v55, 16, v32
	v_fma_f16 v30, v8, v31, v30
	v_mul_f16_sdwa v31, v8, v31 dst_sel:DWORD dst_unused:UNUSED_PAD src0_sel:WORD_1 src1_sel:DWORD
	ds_read_b32 v54, v35 offset:6160
	v_fma_f16 v8, v8, v53, -v31
	v_mul_f16_sdwa v31, v9, v55 dst_sel:DWORD dst_unused:UNUSED_PAD src0_sel:WORD_1 src1_sel:DWORD
	v_lshrrev_b32_e32 v56, 16, v33
	v_fma_f16 v31, v9, v32, v31
	v_mul_f16_sdwa v32, v9, v32 dst_sel:DWORD dst_unused:UNUSED_PAD src0_sel:WORD_1 src1_sel:DWORD
	v_fma_f16 v9, v9, v55, -v32
	v_mul_f16_sdwa v32, v10, v56 dst_sel:DWORD dst_unused:UNUSED_PAD src0_sel:WORD_1 src1_sel:DWORD
	s_waitcnt lgkmcnt(1)
	v_lshrrev_b32_e32 v57, 16, v48
	v_fma_f16 v32, v10, v33, v32
	v_mul_f16_sdwa v33, v10, v33 dst_sel:DWORD dst_unused:UNUSED_PAD src0_sel:WORD_1 src1_sel:DWORD
	v_lshrrev_b32_e32 v58, 16, v49
	v_fma_f16 v10, v10, v56, -v33
	v_mul_f16_sdwa v33, v11, v57 dst_sel:DWORD dst_unused:UNUSED_PAD src0_sel:WORD_1 src1_sel:DWORD
	v_mul_f16_sdwa v34, v11, v48 dst_sel:DWORD dst_unused:UNUSED_PAD src0_sel:WORD_1 src1_sel:DWORD
	s_waitcnt lgkmcnt(0)
	v_lshrrev_b32_e32 v59, 16, v54
	v_fma_f16 v33, v11, v48, v33
	v_fma_f16 v11, v11, v57, -v34
	v_mul_f16_sdwa v34, v19, v58 dst_sel:DWORD dst_unused:UNUSED_PAD src0_sel:WORD_1 src1_sel:DWORD
	v_mul_f16_sdwa v48, v19, v49 dst_sel:DWORD dst_unused:UNUSED_PAD src0_sel:WORD_1 src1_sel:DWORD
	v_fma_f16 v34, v19, v49, v34
	v_fma_f16 v19, v19, v58, -v48
	v_mul_f16_sdwa v48, v20, v59 dst_sel:DWORD dst_unused:UNUSED_PAD src0_sel:WORD_1 src1_sel:DWORD
	v_mul_f16_sdwa v49, v20, v54 dst_sel:DWORD dst_unused:UNUSED_PAD src0_sel:WORD_1 src1_sel:DWORD
	v_fma_f16 v48, v20, v54, v48
	v_fma_f16 v20, v20, v59, -v49
	v_add_f16_e32 v49, v26, v60
	v_add_f16_sdwa v50, v26, v4 dst_sel:DWORD dst_unused:UNUSED_PAD src0_sel:WORD_1 src1_sel:DWORD
	v_add_f16_e32 v49, v49, v27
	v_add_f16_e32 v50, v50, v5
	;; [unrolled: 1-line block ×17, first 2 shown]
	v_sub_f16_e32 v4, v4, v20
	v_add_f16_e32 v49, v49, v48
	v_add_f16_e32 v50, v50, v20
	;; [unrolled: 1-line block ×3, first 2 shown]
	v_sub_f16_e32 v48, v60, v48
	s_mov_b32 s13, 0xb853
	v_mul_f16_e32 v20, 0xb853, v4
	v_mul_f16_e32 v54, 0x3abb, v52
	s_movk_i32 s15, 0x3853
	s_mov_b32 s1, 0xbb47
	v_mul_f16_e32 v56, 0xbb47, v4
	s_movk_i32 s2, 0x36a6
	v_mul_f16_e32 v58, 0x36a6, v52
	s_movk_i32 s3, 0x3b47
	s_mov_b32 s0, 0xbbeb
	v_mul_f16_e32 v60, 0xbbeb, v4
	s_mov_b32 s12, 0xb08e
	v_mul_f16_e32 v62, 0xb08e, v52
	s_movk_i32 s16, 0x3beb
	s_mov_b32 s17, 0xba0c
	v_mul_f16_e32 v68, 0xba0c, v4
	s_mov_b32 s18, 0xb93d
	;; [unrolled: 5-line block ×3, first 2 shown]
	v_mul_f16_e32 v52, 0xbbad, v52
	v_fma_f16 v53, v51, s14, v20
	v_fma_f16 v55, v48, s15, v54
	v_fma_f16 v20, v51, s14, -v20
	v_fma_f16 v54, v48, s13, v54
	v_fma_f16 v57, v51, s2, v56
	v_fma_f16 v59, v48, s3, v58
	v_fma_f16 v56, v51, s2, -v56
	v_fma_f16 v58, v48, s1, v58
	;; [unrolled: 4-line block ×5, first 2 shown]
	v_add_f16_e32 v51, v5, v19
	v_sub_f16_e32 v5, v5, v19
	v_add_f16_e32 v53, v26, v53
	v_add_f16_sdwa v55, v26, v55 dst_sel:DWORD dst_unused:UNUSED_PAD src0_sel:WORD_1 src1_sel:DWORD
	v_add_f16_e32 v20, v26, v20
	v_add_f16_sdwa v54, v26, v54 dst_sel:DWORD dst_unused:UNUSED_PAD src0_sel:WORD_1 src1_sel:DWORD
	;; [unrolled: 2-line block ×10, first 2 shown]
	v_add_f16_e32 v48, v27, v34
	v_mul_f16_e32 v19, 0xbb47, v5
	v_sub_f16_e32 v27, v27, v34
	v_fma_f16 v34, v48, s2, v19
	v_mul_f16_e32 v52, 0x36a6, v51
	v_fma_f16 v19, v48, s2, -v19
	v_add_f16_e32 v34, v34, v53
	v_fma_f16 v53, v27, s3, v52
	v_add_f16_e32 v19, v19, v20
	v_fma_f16 v20, v27, s1, v52
	v_mul_f16_e32 v52, 0xba0c, v5
	v_add_f16_e32 v53, v53, v55
	v_add_f16_e32 v20, v20, v54
	v_fma_f16 v54, v48, s18, v52
	v_mul_f16_e32 v55, 0xb93d, v51
	v_fma_f16 v52, v48, s18, -v52
	v_add_f16_e32 v54, v54, v57
	v_fma_f16 v57, v27, s19, v55
	v_add_f16_e32 v52, v52, v56
	v_fma_f16 v55, v27, s17, v55
	v_mul_f16_e32 v56, 0x3482, v5
	v_add_f16_e32 v57, v57, v59
	v_add_f16_e32 v55, v55, v58
	;; [unrolled: 10-line block ×3, first 2 shown]
	v_fma_f16 v62, v48, s12, v60
	v_mul_f16_e32 v67, 0xb08e, v51
	v_fma_f16 v60, v48, s12, -v60
	v_mul_f16_e32 v5, 0x3853, v5
	v_add_f16_e32 v62, v62, v69
	v_fma_f16 v69, v27, s0, v67
	v_add_f16_e32 v60, v60, v68
	v_fma_f16 v67, v27, s16, v67
	v_fma_f16 v68, v48, s14, v5
	v_mul_f16_e32 v51, 0x3abb, v51
	v_fma_f16 v5, v48, s14, -v5
	v_add_f16_e32 v67, v67, v70
	v_fma_f16 v70, v27, s13, v51
	v_add_f16_e32 v4, v5, v4
	v_fma_f16 v5, v27, s15, v51
	v_add_f16_e32 v27, v6, v11
	v_sub_f16_e32 v6, v6, v11
	v_add_f16_e32 v5, v5, v26
	v_add_f16_e32 v26, v28, v33
	v_mul_f16_e32 v11, 0xbbeb, v6
	v_sub_f16_e32 v28, v28, v33
	v_fma_f16 v33, v26, s12, v11
	v_add_f16_e32 v33, v33, v34
	v_mul_f16_e32 v34, 0xb08e, v27
	v_fma_f16 v11, v26, s12, -v11
	v_add_f16_e32 v11, v11, v19
	v_fma_f16 v19, v28, s0, v34
	v_add_f16_e32 v19, v19, v20
	v_mul_f16_e32 v20, 0x3482, v6
	v_fma_f16 v48, v28, s16, v34
	v_fma_f16 v34, v26, s21, v20
	v_fma_f16 v20, v26, s21, -v20
	v_mul_f16_e32 v51, 0xbbad, v27
	v_add_f16_e32 v20, v20, v52
	v_mul_f16_e32 v52, 0x3b47, v6
	v_add_f16_e32 v48, v48, v53
	v_add_f16_e32 v34, v34, v54
	v_fma_f16 v53, v28, s20, v51
	v_fma_f16 v51, v28, s22, v51
	;; [unrolled: 1-line block ×3, first 2 shown]
	v_fma_f16 v52, v26, s2, -v52
	v_add_f16_e32 v51, v51, v55
	v_mul_f16_e32 v55, 0x36a6, v27
	v_add_f16_e32 v52, v52, v56
	v_mul_f16_e32 v56, 0xb853, v6
	v_add_f16_e32 v53, v53, v57
	v_add_f16_e32 v54, v54, v58
	v_fma_f16 v57, v28, s1, v55
	v_fma_f16 v55, v28, s3, v55
	;; [unrolled: 1-line block ×3, first 2 shown]
	v_fma_f16 v56, v26, s14, -v56
	v_mul_f16_e32 v6, 0xba0c, v6
	v_add_f16_e32 v55, v55, v59
	v_mul_f16_e32 v59, 0x3abb, v27
	v_add_f16_e32 v56, v56, v60
	v_fma_f16 v60, v26, s18, v6
	v_mul_f16_e32 v27, 0xb93d, v27
	v_fma_f16 v6, v26, s18, -v6
	v_add_f16_e32 v4, v6, v4
	v_fma_f16 v6, v28, s17, v27
	v_add_f16_e32 v26, v7, v10
	v_sub_f16_e32 v7, v7, v10
	v_add_f16_e32 v5, v6, v5
	v_add_f16_e32 v6, v29, v32
	v_mul_f16_e32 v10, 0xba0c, v7
	v_add_f16_e32 v57, v57, v61
	v_add_f16_e32 v58, v58, v62
	v_fma_f16 v61, v28, s15, v59
	v_fma_f16 v59, v28, s13, v59
	;; [unrolled: 1-line block ×3, first 2 shown]
	v_sub_f16_e32 v27, v29, v32
	v_fma_f16 v28, v6, s18, v10
	v_mul_f16_e32 v29, 0xb93d, v26
	v_fma_f16 v10, v6, s18, -v10
	v_add_f16_e32 v10, v10, v11
	v_fma_f16 v11, v27, s17, v29
	v_add_f16_e32 v11, v11, v19
	v_mul_f16_e32 v19, 0x3beb, v7
	v_add_f16_e32 v28, v28, v33
	v_fma_f16 v32, v27, s19, v29
	v_fma_f16 v29, v6, s12, v19
	v_mul_f16_e32 v33, 0xb08e, v26
	v_fma_f16 v19, v6, s12, -v19
	v_add_f16_e32 v29, v29, v34
	v_fma_f16 v34, v27, s0, v33
	v_add_f16_e32 v19, v19, v20
	v_fma_f16 v20, v27, s16, v33
	v_mul_f16_e32 v33, 0xb853, v7
	v_add_f16_e32 v32, v32, v48
	v_add_f16_e32 v20, v20, v51
	v_fma_f16 v48, v6, s14, v33
	v_mul_f16_e32 v51, 0x3abb, v26
	v_fma_f16 v33, v6, s14, -v33
	v_add_f16_e32 v34, v34, v53
	v_fma_f16 v53, v27, s15, v51
	v_add_f16_e32 v33, v33, v52
	v_fma_f16 v51, v27, s13, v51
	v_mul_f16_e32 v52, 0xb482, v7
	v_add_f16_e32 v70, v70, v73
	v_add_f16_e32 v48, v48, v54
	;; [unrolled: 1-line block ×3, first 2 shown]
	v_fma_f16 v54, v6, s21, v52
	v_mul_f16_e32 v55, 0xbbad, v26
	v_fma_f16 v52, v6, s21, -v52
	v_mul_f16_e32 v7, 0x3b47, v7
	v_mul_f16_e32 v26, 0x36a6, v26
	v_add_f16_e32 v69, v69, v71
	v_add_f16_e32 v68, v68, v72
	;; [unrolled: 1-line block ×6, first 2 shown]
	v_fma_f16 v57, v27, s22, v55
	v_add_f16_e32 v52, v52, v56
	v_fma_f16 v55, v27, s20, v55
	v_fma_f16 v56, v6, s2, v7
	;; [unrolled: 1-line block ×3, first 2 shown]
	v_fma_f16 v6, v6, s2, -v7
	v_add_f16_e32 v61, v61, v69
	v_add_f16_e32 v60, v60, v68
	;; [unrolled: 1-line block ×5, first 2 shown]
	v_fma_f16 v4, v27, s3, v26
	v_add_f16_e32 v62, v8, v9
	v_sub_f16_e32 v8, v8, v9
	v_add_f16_e32 v57, v57, v61
	v_add_f16_e32 v56, v56, v60
	;; [unrolled: 1-line block ×4, first 2 shown]
	v_mul_f16_e32 v4, 0xb482, v8
	v_fma_f16 v5, v61, s21, v4
	v_sub_f16_e32 v30, v30, v31
	v_add_f16_e32 v9, v5, v28
	v_mul_f16_e32 v5, 0xbbad, v62
	v_fma_f16 v4, v61, s21, -v4
	v_add_f16_e32 v7, v4, v10
	v_fma_f16 v4, v30, s20, v5
	v_add_f16_e32 v26, v4, v11
	v_mul_f16_e32 v4, 0x3853, v8
	v_fma_f16 v6, v30, s22, v5
	v_fma_f16 v5, v61, s14, v4
	v_add_f16_e32 v10, v5, v29
	v_mul_f16_e32 v5, 0x3abb, v62
	v_add_f16_e32 v31, v6, v32
	v_fma_f16 v6, v30, s13, v5
	v_fma_f16 v4, v61, s14, -v4
	v_add_f16_e32 v11, v6, v34
	v_add_f16_e32 v6, v4, v19
	v_fma_f16 v4, v30, s15, v5
	v_add_f16_e32 v27, v4, v20
	v_mul_f16_e32 v4, 0xba0c, v8
	v_fma_f16 v5, v61, s18, v4
	v_mul_f16_e32 v20, 0xb93d, v62
	v_add_f16_e32 v19, v5, v48
	v_fma_f16 v5, v30, s19, v20
	v_fma_f16 v4, v61, s18, -v4
	v_add_f16_e32 v32, v5, v53
	v_add_f16_e32 v5, v4, v33
	v_fma_f16 v4, v30, s17, v20
	v_add_f16_e32 v29, v4, v51
	v_mul_f16_e32 v4, 0x3b47, v8
	v_mul_f16_e32 v28, 0x36a6, v62
	;; [unrolled: 1-line block ×4, first 2 shown]
	v_fma_f16 v20, v61, s2, v4
	v_fma_f16 v33, v30, s1, v28
	;; [unrolled: 1-line block ×6, first 2 shown]
	v_pack_b32_f16 v48, v49, v50
	v_pack_b32_f16 v9, v9, v31
	v_add_f16_e32 v20, v20, v54
	v_add_f16_e32 v33, v33, v57
	v_fma_f16 v4, v61, s2, -v4
	v_add_f16_e32 v34, v34, v56
	v_add_f16_e32 v51, v51, v58
	v_fma_f16 v8, v61, s12, -v8
	s_barrier
	ds_write2_b32 v63, v48, v9 offset1:22
	v_pack_b32_f16 v9, v10, v11
	v_pack_b32_f16 v10, v19, v32
	v_add_f16_e32 v4, v4, v52
	v_add_f16_e32 v28, v28, v55
	v_add_f16_e32 v8, v8, v59
	v_add_f16_e32 v30, v30, v60
	ds_write2_b32 v63, v9, v10 offset0:44 offset1:66
	v_pack_b32_f16 v9, v20, v33
	v_pack_b32_f16 v10, v34, v51
	ds_write2_b32 v63, v9, v10 offset0:88 offset1:110
	v_pack_b32_f16 v8, v8, v30
	v_pack_b32_f16 v9, v4, v28
	;; [unrolled: 3-line block ×3, first 2 shown]
	ds_write2_b32 v63, v8, v9 offset0:176 offset1:198
	v_pack_b32_f16 v8, v7, v26
	v_add_u32_e32 v30, 0x780, v35
	v_add_u32_e32 v31, 0xf00, v35
	ds_write_b32 v63, v8 offset:880
	s_waitcnt lgkmcnt(0)
	s_barrier
	ds_read2_b32 v[8:9], v35 offset1:242
	ds_read2_b32 v[19:20], v30 offset0:4 offset1:246
	ds_read2_b32 v[10:11], v31 offset0:8 offset1:250
	ds_read_b32 v32, v35 offset:5808
	s_and_saveexec_b64 s[0:1], s[4:5]
	s_cbranch_execz .LBB0_15
; %bb.14:
	v_add_u32_e32 v4, 0x240, v35
	v_add_u32_e32 v6, 0x9e0, v35
	;; [unrolled: 1-line block ×3, first 2 shown]
	ds_read2_b32 v[4:5], v4 offset0:10 offset1:252
	ds_read2_b32 v[6:7], v6 offset0:6 offset1:248
	;; [unrolled: 1-line block ×3, first 2 shown]
	ds_read_b32 v65, v35 offset:6424
	s_waitcnt lgkmcnt(3)
	v_lshrrev_b32_e32 v28, 16, v4
	v_lshrrev_b32_e32 v29, 16, v5
	s_waitcnt lgkmcnt(2)
	v_lshrrev_b32_e32 v27, 16, v6
	v_lshrrev_b32_e32 v26, 16, v7
	;; [unrolled: 3-line block ×3, first 2 shown]
	s_waitcnt lgkmcnt(0)
	v_lshrrev_b32_e32 v66, 16, v65
.LBB0_15:
	s_or_b64 exec, exec, s[0:1]
	s_waitcnt lgkmcnt(3)
	v_lshrrev_b32_e32 v33, 16, v9
	v_mul_f16_sdwa v52, v12, v33 dst_sel:DWORD dst_unused:UNUSED_PAD src0_sel:WORD_1 src1_sel:DWORD
	s_waitcnt lgkmcnt(2)
	v_lshrrev_b32_e32 v34, 16, v19
	v_fma_f16 v52, v12, v9, v52
	v_mul_f16_sdwa v9, v12, v9 dst_sel:DWORD dst_unused:UNUSED_PAD src0_sel:WORD_1 src1_sel:DWORD
	v_fma_f16 v9, v12, v33, -v9
	v_mul_f16_sdwa v12, v13, v34 dst_sel:DWORD dst_unused:UNUSED_PAD src0_sel:WORD_1 src1_sel:DWORD
	v_lshrrev_b32_e32 v48, 16, v20
	v_fma_f16 v12, v13, v19, v12
	v_mul_f16_sdwa v19, v13, v19 dst_sel:DWORD dst_unused:UNUSED_PAD src0_sel:WORD_1 src1_sel:DWORD
	v_fma_f16 v13, v13, v34, -v19
	v_mul_f16_sdwa v19, v14, v48 dst_sel:DWORD dst_unused:UNUSED_PAD src0_sel:WORD_1 src1_sel:DWORD
	s_waitcnt lgkmcnt(1)
	v_lshrrev_b32_e32 v49, 16, v10
	v_fma_f16 v19, v14, v20, v19
	v_mul_f16_sdwa v20, v14, v20 dst_sel:DWORD dst_unused:UNUSED_PAD src0_sel:WORD_1 src1_sel:DWORD
	v_fma_f16 v14, v14, v48, -v20
	v_mul_f16_sdwa v20, v15, v49 dst_sel:DWORD dst_unused:UNUSED_PAD src0_sel:WORD_1 src1_sel:DWORD
	v_lshrrev_b32_e32 v50, 16, v11
	v_fma_f16 v20, v15, v10, v20
	v_mul_f16_sdwa v10, v15, v10 dst_sel:DWORD dst_unused:UNUSED_PAD src0_sel:WORD_1 src1_sel:DWORD
	v_fma_f16 v10, v15, v49, -v10
	v_mul_f16_sdwa v15, v21, v50 dst_sel:DWORD dst_unused:UNUSED_PAD src0_sel:WORD_1 src1_sel:DWORD
	s_waitcnt lgkmcnt(0)
	v_lshrrev_b32_e32 v51, 16, v32
	v_fma_f16 v15, v21, v11, v15
	v_mul_f16_sdwa v11, v21, v11 dst_sel:DWORD dst_unused:UNUSED_PAD src0_sel:WORD_1 src1_sel:DWORD
	v_fma_f16 v11, v21, v50, -v11
	v_mul_f16_sdwa v21, v22, v51 dst_sel:DWORD dst_unused:UNUSED_PAD src0_sel:WORD_1 src1_sel:DWORD
	v_fma_f16 v21, v22, v32, v21
	v_mul_f16_sdwa v32, v22, v32 dst_sel:DWORD dst_unused:UNUSED_PAD src0_sel:WORD_1 src1_sel:DWORD
	v_fma_f16 v22, v22, v51, -v32
	v_add_f16_e32 v32, v52, v21
	v_add_f16_e32 v33, v9, v22
	v_sub_f16_e32 v9, v9, v22
	v_add_f16_e32 v22, v12, v15
	v_add_f16_e32 v34, v13, v11
	v_sub_f16_e32 v12, v12, v15
	v_sub_f16_e32 v11, v13, v11
	v_add_f16_e32 v13, v19, v20
	v_add_f16_e32 v15, v14, v10
	v_sub_f16_e32 v19, v20, v19
	;; [unrolled: 4-line block ×3, first 2 shown]
	v_sub_f16_e32 v48, v22, v32
	v_sub_f16_e32 v49, v34, v33
	;; [unrolled: 1-line block ×6, first 2 shown]
	v_add_f16_e32 v50, v19, v12
	v_add_f16_e32 v51, v10, v11
	v_sub_f16_e32 v52, v19, v12
	v_sub_f16_e32 v53, v10, v11
	v_add_f16_e32 v13, v13, v14
	v_add_f16_e32 v14, v15, v20
	v_sub_f16_e32 v19, v21, v19
	v_sub_f16_e32 v10, v9, v10
	;; [unrolled: 1-line block ×4, first 2 shown]
	v_add_f16_e32 v15, v50, v21
	v_add_f16_e32 v9, v51, v9
	;; [unrolled: 1-line block ×3, first 2 shown]
	v_add_f16_sdwa v8, v8, v14 dst_sel:DWORD dst_unused:UNUSED_PAD src0_sel:WORD_1 src1_sel:DWORD
	v_mul_f16_e32 v21, 0x3a52, v32
	v_mul_f16_e32 v32, 0x3a52, v33
	s_movk_i32 s15, 0x2b26
	v_mul_f16_e32 v33, 0x2b26, v22
	v_mul_f16_e32 v50, 0x2b26, v34
	;; [unrolled: 1-line block ×4, first 2 shown]
	s_mov_b32 s16, 0xbcab
	s_movk_i32 s3, 0x39e0
	s_mov_b32 s12, 0xb9e0
	s_mov_b32 s17, 0xb574
	s_mov_b32 s2, 0xbb00
	v_mul_f16_e32 v53, 0xbb00, v12
	v_mul_f16_e32 v54, 0xbb00, v11
	v_fma_f16 v13, v13, s16, v20
	v_fma_f16 v14, v14, s16, v8
	;; [unrolled: 1-line block ×4, first 2 shown]
	v_fma_f16 v33, v48, s3, -v33
	v_fma_f16 v50, v49, s3, -v50
	;; [unrolled: 1-line block ×4, first 2 shown]
	v_fma_f16 v48, v19, s17, v51
	v_fma_f16 v49, v10, s17, v52
	s_movk_i32 s13, 0x3574
	s_mov_b32 s14, 0xb70e
	v_fma_f16 v12, v12, s2, -v51
	v_fma_f16 v11, v11, s2, -v52
	;; [unrolled: 1-line block ×4, first 2 shown]
	v_add_f16_e32 v22, v22, v13
	v_add_f16_e32 v34, v34, v14
	;; [unrolled: 1-line block ×6, first 2 shown]
	v_fma_f16 v21, v15, s14, v48
	v_fma_f16 v32, v9, s14, v49
	;; [unrolled: 1-line block ×6, first 2 shown]
	v_add_f16_e32 v10, v32, v22
	v_sub_f16_e32 v19, v34, v21
	v_add_f16_e32 v48, v9, v13
	v_sub_f16_e32 v49, v14, v15
	v_sub_f16_e32 v51, v33, v11
	v_add_f16_e32 v52, v12, v50
	v_pack_b32_f16 v8, v20, v8
	v_pack_b32_f16 v10, v10, v19
	v_add_f16_e32 v11, v11, v33
	v_sub_f16_e32 v12, v50, v12
	v_sub_f16_e32 v9, v13, v9
	v_add_f16_e32 v13, v15, v14
	ds_write2_b32 v35, v8, v10 offset1:242
	v_pack_b32_f16 v8, v48, v49
	v_pack_b32_f16 v10, v51, v52
	v_sub_f16_e32 v14, v22, v32
	v_add_f16_e32 v15, v21, v34
	ds_write2_b32 v30, v8, v10 offset0:4 offset1:246
	v_pack_b32_f16 v8, v11, v12
	v_pack_b32_f16 v9, v9, v13
	ds_write2_b32 v31, v8, v9 offset0:8 offset1:250
	v_pack_b32_f16 v8, v14, v15
	ds_write_b32 v35, v8 offset:5808
	s_and_saveexec_b64 s[0:1], s[4:5]
	s_cbranch_execz .LBB0_17
; %bb.16:
	v_mul_f16_sdwa v8, v0, v29 dst_sel:DWORD dst_unused:UNUSED_PAD src0_sel:WORD_1 src1_sel:DWORD
	v_mul_f16_sdwa v12, v2, v26 dst_sel:DWORD dst_unused:UNUSED_PAD src0_sel:WORD_1 src1_sel:DWORD
	;; [unrolled: 1-line block ×4, first 2 shown]
	v_fma_f16 v8, v0, v5, v8
	v_mul_f16_sdwa v9, v18, v66 dst_sel:DWORD dst_unused:UNUSED_PAD src0_sel:WORD_1 src1_sel:DWORD
	v_fma_f16 v12, v2, v7, v12
	v_fma_f16 v15, v1, v6, v15
	;; [unrolled: 1-line block ×3, first 2 shown]
	v_mul_f16_sdwa v30, v18, v65 dst_sel:DWORD dst_unused:UNUSED_PAD src0_sel:WORD_1 src1_sel:DWORD
	v_mul_f16_sdwa v5, v0, v5 dst_sel:DWORD dst_unused:UNUSED_PAD src0_sel:WORD_1 src1_sel:DWORD
	;; [unrolled: 1-line block ×5, first 2 shown]
	v_fma_f16 v9, v18, v65, v9
	v_mul_f16_sdwa v11, v3, v25 dst_sel:DWORD dst_unused:UNUSED_PAD src0_sel:WORD_1 src1_sel:DWORD
	v_fma_f16 v18, v18, v66, -v30
	v_fma_f16 v0, v0, v29, -v5
	;; [unrolled: 1-line block ×3, first 2 shown]
	v_mul_f16_sdwa v7, v3, v23 dst_sel:DWORD dst_unused:UNUSED_PAD src0_sel:WORD_1 src1_sel:DWORD
	v_fma_f16 v17, v17, v64, -v24
	v_fma_f16 v1, v1, v27, -v6
	v_fma_f16 v11, v3, v23, v11
	v_add_f16_e32 v5, v18, v0
	v_fma_f16 v3, v3, v25, -v7
	v_add_f16_e32 v6, v17, v1
	v_add_f16_e32 v7, v3, v2
	;; [unrolled: 1-line block ×3, first 2 shown]
	v_sub_f16_e32 v0, v0, v18
	v_sub_f16_e32 v2, v3, v2
	;; [unrolled: 1-line block ×8, first 2 shown]
	v_add_f16_e32 v7, v7, v26
	v_add_f16_e32 v8, v9, v8
	;; [unrolled: 1-line block ×4, first 2 shown]
	v_sub_f16_e32 v3, v0, v2
	v_sub_f16_e32 v17, v2, v1
	v_add_f16_e32 v2, v2, v1
	v_sub_f16_e32 v14, v10, v13
	v_sub_f16_e32 v21, v13, v20
	v_add_f16_e32 v13, v13, v20
	v_add_f16_e32 v26, v28, v7
	;; [unrolled: 1-line block ×4, first 2 shown]
	v_sub_f16_e32 v0, v1, v0
	v_add_f16_e32 v13, v13, v10
	v_mul_f16_e32 v23, 0x3a52, v23
	v_mul_f16_e32 v25, 0x2b26, v24
	v_sub_f16_e32 v11, v8, v9
	v_sub_f16_e32 v15, v9, v12
	v_add_f16_e32 v9, v9, v28
	v_mul_f16_e32 v17, 0x3846, v17
	v_sub_f16_e32 v10, v20, v10
	v_sub_f16_e32 v5, v6, v5
	v_mul_f16_e32 v1, 0xbb00, v0
	v_mul_f16_e32 v21, 0x3846, v21
	v_fma_f16 v24, v24, s15, v23
	v_fma_f16 v7, v7, s16, v26
	v_mul_f16_e32 v11, 0x3a52, v11
	v_mul_f16_e32 v19, 0x2b26, v15
	v_add_f16_e32 v4, v4, v9
	v_fma_f16 v18, v3, s17, v17
	v_mul_f16_e32 v20, 0xbb00, v10
	v_fma_f16 v6, v5, s12, -v23
	v_sub_f16_e32 v8, v12, v8
	v_fma_f16 v1, v3, s13, -v1
	v_fma_f16 v5, v5, s3, -v25
	;; [unrolled: 1-line block ×3, first 2 shown]
	v_fma_f16 v22, v14, s17, v21
	v_add_f16_e32 v24, v24, v7
	v_fma_f16 v15, v15, s15, v11
	v_fma_f16 v9, v9, s16, v4
	;; [unrolled: 1-line block ×3, first 2 shown]
	v_fma_f16 v14, v14, s13, -v20
	v_add_f16_e32 v6, v6, v7
	v_fma_f16 v11, v8, s12, -v11
	v_fma_f16 v1, v2, s14, v1
	v_add_f16_e32 v5, v5, v7
	v_fma_f16 v7, v10, s2, -v21
	v_fma_f16 v0, v2, s14, v0
	v_fma_f16 v2, v8, s3, -v19
	v_fma_f16 v22, v13, s14, v22
	v_add_f16_e32 v15, v15, v9
	v_fma_f16 v14, v13, s14, v14
	v_add_f16_e32 v11, v11, v9
	;; [unrolled: 2-line block ×3, first 2 shown]
	v_add_f16_e32 v20, v14, v6
	v_sub_f16_e32 v3, v11, v1
	v_sub_f16_e32 v10, v5, v7
	v_add_f16_e32 v8, v0, v2
	v_add_f16_e32 v5, v7, v5
	v_sub_f16_e32 v0, v2, v0
	v_sub_f16_e32 v2, v6, v14
	v_add_f16_e32 v1, v1, v11
	v_sub_f16_e32 v6, v24, v22
	v_add_f16_e32 v7, v18, v15
	v_pack_b32_f16 v4, v4, v26
	v_pack_b32_f16 v6, v7, v6
	v_add_u32_e32 v7, 0x240, v35
	v_pack_b32_f16 v1, v1, v2
	v_pack_b32_f16 v0, v0, v5
	v_add_u32_e32 v2, 0x9e0, v35
	v_add_f16_e32 v27, v22, v24
	v_sub_f16_e32 v28, v15, v18
	ds_write2_b32 v7, v4, v6 offset0:10 offset1:252
	ds_write2_b32 v2, v1, v0 offset0:6 offset1:248
	v_pack_b32_f16 v0, v8, v10
	v_pack_b32_f16 v1, v3, v20
	v_add_u32_e32 v2, 0x1180, v35
	ds_write2_b32 v2, v0, v1 offset0:2 offset1:244
	v_pack_b32_f16 v0, v28, v27
	ds_write_b32 v35, v0 offset:6424
.LBB0_17:
	s_or_b64 exec, exec, s[0:1]
	s_waitcnt lgkmcnt(0)
	s_barrier
	ds_read2_b32 v[0:1], v35 offset1:154
	s_mov_b32 s2, 0xe9078e5b
	s_mov_b32 s3, 0x3f4357f3
	v_mad_u64_u32 v[4:5], s[0:1], s10, v16, 0
	s_waitcnt lgkmcnt(0)
	v_lshrrev_b32_e32 v7, 16, v0
	v_mul_f16_sdwa v2, v47, v7 dst_sel:DWORD dst_unused:UNUSED_PAD src0_sel:WORD_1 src1_sel:DWORD
	v_fma_f16 v2, v47, v0, v2
	v_cvt_f32_f16_e32 v2, v2
	s_movk_i32 s4, 0x1ff
	v_mad_u64_u32 v[5:6], s[0:1], s11, v16, v[5:6]
	v_cvt_f64_f32_e32 v[2:3], v2
	s_movk_i32 s5, 0xffe
	v_mul_f16_sdwa v0, v47, v0 dst_sel:DWORD dst_unused:UNUSED_PAD src0_sel:WORD_1 src1_sel:DWORD
	v_fma_f16 v0, v47, v7, -v0
	v_mul_f64 v[2:3], v[2:3], s[2:3]
	v_cvt_f32_f16_e32 v7, v0
	v_mov_b32_e32 v0, 0x7c00
	s_movk_i32 s10, 0x40f
	s_mov_b32 s11, 0x8000
	v_lshrrev_b32_e32 v11, 16, v1
	v_and_or_b32 v2, v3, s4, v2
	v_cmp_ne_u32_e32 vcc, 0, v2
	v_lshrrev_b32_e32 v6, 8, v3
	v_bfe_u32 v8, v3, 20, 11
	v_cndmask_b32_e64 v2, 0, 1, vcc
	v_sub_u32_e32 v9, 0x3f1, v8
	v_and_or_b32 v2, v6, s5, v2
	v_or_b32_e32 v6, 0x1000, v2
	v_med3_i32 v9, v9, 0, 13
	v_lshrrev_b32_e32 v10, v9, v6
	v_lshlrev_b32_e32 v9, v9, v10
	v_cmp_ne_u32_e32 vcc, v9, v6
	v_cndmask_b32_e64 v6, 0, 1, vcc
	v_add_u32_e32 v8, 0xfffffc10, v8
	v_or_b32_e32 v6, v10, v6
	v_lshl_or_b32 v9, v8, 12, v2
	v_cmp_gt_i32_e32 vcc, 1, v8
	v_cndmask_b32_e32 v6, v9, v6, vcc
	v_and_b32_e32 v9, 7, v6
	v_cmp_lt_i32_e32 vcc, 5, v9
	v_cmp_eq_u32_e64 s[0:1], 3, v9
	v_lshrrev_b32_e32 v6, 2, v6
	s_or_b64 vcc, s[0:1], vcc
	v_addc_co_u32_e32 v9, vcc, 0, v6, vcc
	v_cvt_f64_f32_e32 v[6:7], v7
	v_cmp_gt_i32_e32 vcc, 31, v8
	v_cndmask_b32_e32 v9, v0, v9, vcc
	v_cmp_ne_u32_e32 vcc, 0, v2
	v_mul_f64 v[6:7], v[6:7], s[2:3]
	v_cndmask_b32_e64 v2, 0, 1, vcc
	v_lshl_or_b32 v2, v2, 9, v0
	v_cmp_eq_u32_e32 vcc, s10, v8
	v_cndmask_b32_e32 v2, v9, v2, vcc
	v_lshrrev_b32_e32 v3, 16, v3
	v_and_or_b32 v8, v3, s11, v2
	v_and_b32_e32 v8, 0xffff, v8
	v_and_or_b32 v2, v7, s4, v6
	v_cmp_ne_u32_e32 vcc, 0, v2
	v_cndmask_b32_e64 v2, 0, 1, vcc
	v_lshrrev_b32_e32 v3, 8, v7
	v_bfe_u32 v6, v7, 20, 11
	v_and_or_b32 v2, v3, s5, v2
	v_sub_u32_e32 v9, 0x3f1, v6
	v_or_b32_e32 v3, 0x1000, v2
	v_med3_i32 v9, v9, 0, 13
	v_lshrrev_b32_e32 v10, v9, v3
	v_lshlrev_b32_e32 v9, v9, v10
	v_cmp_ne_u32_e32 vcc, v9, v3
	v_cndmask_b32_e64 v3, 0, 1, vcc
	v_add_u32_e32 v6, 0xfffffc10, v6
	v_or_b32_e32 v3, v10, v3
	v_lshl_or_b32 v9, v6, 12, v2
	v_cmp_gt_i32_e32 vcc, 1, v6
	v_cndmask_b32_e32 v3, v9, v3, vcc
	v_and_b32_e32 v9, 7, v3
	v_cmp_lt_i32_e32 vcc, 5, v9
	v_cmp_eq_u32_e64 s[0:1], 3, v9
	v_lshrrev_b32_e32 v3, 2, v3
	s_or_b64 vcc, s[0:1], vcc
	v_addc_co_u32_e32 v3, vcc, 0, v3, vcc
	v_cmp_gt_i32_e32 vcc, 31, v6
	v_cndmask_b32_e32 v9, v0, v3, vcc
	v_cmp_ne_u32_e32 vcc, 0, v2
	v_cndmask_b32_e64 v2, 0, 1, vcc
	v_lshl_or_b32 v10, v2, 9, v0
	v_mad_u64_u32 v[2:3], s[0:1], s8, v45, 0
	v_cmp_eq_u32_e32 vcc, s10, v6
	v_cndmask_b32_e32 v9, v9, v10, vcc
	v_lshrrev_b32_e32 v10, 16, v7
	v_mad_u64_u32 v[6:7], s[0:1], s9, v45, v[3:4]
	v_mul_f16_sdwa v3, v46, v11 dst_sel:DWORD dst_unused:UNUSED_PAD src0_sel:WORD_1 src1_sel:DWORD
	v_fma_f16 v3, v46, v1, v3
	v_cvt_f32_f16_e32 v7, v3
	v_mov_b32_e32 v3, v6
	v_lshlrev_b64 v[4:5], 2, v[4:5]
	v_and_or_b32 v9, v10, s11, v9
	v_cvt_f64_f32_e32 v[6:7], v7
	v_lshl_or_b32 v8, v9, 16, v8
	v_mov_b32_e32 v9, s7
	v_add_co_u32_e32 v4, vcc, s6, v4
	v_mul_f64 v[6:7], v[6:7], s[2:3]
	v_lshlrev_b64 v[2:3], 2, v[2:3]
	v_addc_co_u32_e32 v5, vcc, v9, v5, vcc
	v_add_co_u32_e32 v2, vcc, v4, v2
	v_addc_co_u32_e32 v3, vcc, v5, v3, vcc
	v_and_or_b32 v4, v7, s4, v6
	v_cmp_ne_u32_e32 vcc, 0, v4
	v_cndmask_b32_e64 v4, 0, 1, vcc
	v_lshrrev_b32_e32 v5, 8, v7
	v_and_or_b32 v6, v5, s5, v4
	v_bfe_u32 v5, v7, 20, 11
	global_store_dword v[2:3], v8, off
	v_sub_u32_e32 v8, 0x3f1, v5
	v_or_b32_e32 v4, 0x1000, v6
	v_med3_i32 v8, v8, 0, 13
	v_lshrrev_b32_e32 v9, v8, v4
	v_lshlrev_b32_e32 v8, v8, v9
	v_mul_f16_sdwa v1, v46, v1 dst_sel:DWORD dst_unused:UNUSED_PAD src0_sel:WORD_1 src1_sel:DWORD
	v_cmp_ne_u32_e32 vcc, v8, v4
	v_fma_f16 v1, v46, v11, -v1
	v_cndmask_b32_e64 v4, 0, 1, vcc
	v_add_u32_e32 v8, 0xfffffc10, v5
	v_cvt_f32_f16_e32 v1, v1
	v_or_b32_e32 v4, v9, v4
	v_lshl_or_b32 v5, v8, 12, v6
	v_cmp_gt_i32_e32 vcc, 1, v8
	v_cndmask_b32_e32 v4, v5, v4, vcc
	v_and_b32_e32 v5, 7, v4
	v_cmp_lt_i32_e32 vcc, 5, v5
	v_cmp_eq_u32_e64 s[0:1], 3, v5
	v_lshrrev_b32_e32 v9, 2, v4
	v_cvt_f64_f32_e32 v[4:5], v1
	s_or_b64 vcc, s[0:1], vcc
	v_addc_co_u32_e32 v1, vcc, 0, v9, vcc
	v_mul_f64 v[4:5], v[4:5], s[2:3]
	v_cmp_gt_i32_e32 vcc, 31, v8
	v_cndmask_b32_e32 v1, v0, v1, vcc
	v_cmp_ne_u32_e32 vcc, 0, v6
	v_cndmask_b32_e64 v6, 0, 1, vcc
	v_lshl_or_b32 v6, v6, 9, v0
	v_cmp_eq_u32_e32 vcc, s10, v8
	v_cndmask_b32_e32 v1, v1, v6, vcc
	v_and_or_b32 v4, v5, s4, v4
	v_lshrrev_b32_e32 v6, 16, v7
	v_cmp_ne_u32_e32 vcc, 0, v4
	v_and_or_b32 v1, v6, s11, v1
	v_cndmask_b32_e64 v4, 0, 1, vcc
	v_lshrrev_b32_e32 v6, 8, v5
	v_bfe_u32 v7, v5, 20, 11
	v_and_or_b32 v4, v6, s5, v4
	v_sub_u32_e32 v8, 0x3f1, v7
	v_or_b32_e32 v6, 0x1000, v4
	v_med3_i32 v8, v8, 0, 13
	v_lshrrev_b32_e32 v9, v8, v6
	v_lshlrev_b32_e32 v8, v8, v9
	v_cmp_ne_u32_e32 vcc, v8, v6
	v_cndmask_b32_e64 v6, 0, 1, vcc
	v_add_u32_e32 v8, 0xfffffc10, v7
	v_or_b32_e32 v6, v9, v6
	v_lshl_or_b32 v7, v8, 12, v4
	v_cmp_gt_i32_e32 vcc, 1, v8
	v_cndmask_b32_e32 v6, v7, v6, vcc
	v_and_b32_e32 v7, 7, v6
	v_cmp_lt_i32_e32 vcc, 5, v7
	v_cmp_eq_u32_e64 s[0:1], 3, v7
	v_lshrrev_b32_e32 v6, 2, v6
	s_or_b64 vcc, s[0:1], vcc
	v_addc_co_u32_e32 v6, vcc, 0, v6, vcc
	v_cmp_gt_i32_e32 vcc, 31, v8
	v_cndmask_b32_e32 v9, v0, v6, vcc
	v_add_u32_e32 v6, 0x400, v35
	ds_read2_b32 v[6:7], v6 offset0:52 offset1:206
	v_cmp_ne_u32_e32 vcc, 0, v4
	v_cndmask_b32_e64 v4, 0, 1, vcc
	v_lshl_or_b32 v4, v4, 9, v0
	v_cmp_eq_u32_e32 vcc, s10, v8
	s_waitcnt lgkmcnt(0)
	v_lshrrev_b32_e32 v8, 16, v6
	v_cndmask_b32_e32 v4, v9, v4, vcc
	v_mul_f16_sdwa v9, v44, v8 dst_sel:DWORD dst_unused:UNUSED_PAD src0_sel:WORD_1 src1_sel:DWORD
	v_fma_f16 v9, v44, v6, v9
	v_cvt_f32_f16_e32 v9, v9
	v_lshrrev_b32_e32 v5, 16, v5
	v_and_or_b32 v4, v5, s11, v4
	v_and_b32_e32 v1, 0xffff, v1
	v_lshl_or_b32 v10, v4, 16, v1
	v_cvt_f64_f32_e32 v[4:5], v9
	s_mul_i32 s0, s9, 0x268
	s_mul_hi_u32 s6, s8, 0x268
	s_add_i32 s6, s6, s0
	v_mul_f64 v[4:5], v[4:5], s[2:3]
	s_mul_i32 s7, s8, 0x268
	v_mov_b32_e32 v9, s6
	v_add_co_u32_e32 v1, vcc, s7, v2
	v_addc_co_u32_e32 v2, vcc, v3, v9, vcc
	global_store_dword v[1:2], v10, off
	v_and_or_b32 v3, v5, s4, v4
	v_cmp_ne_u32_e32 vcc, 0, v3
	v_cndmask_b32_e64 v3, 0, 1, vcc
	v_lshrrev_b32_e32 v4, 8, v5
	v_and_or_b32 v9, v4, s5, v3
	v_bfe_u32 v4, v5, 20, 11
	v_sub_u32_e32 v10, 0x3f1, v4
	v_or_b32_e32 v3, 0x1000, v9
	v_med3_i32 v10, v10, 0, 13
	v_lshrrev_b32_e32 v11, v10, v3
	v_lshlrev_b32_e32 v10, v10, v11
	v_mul_f16_sdwa v6, v44, v6 dst_sel:DWORD dst_unused:UNUSED_PAD src0_sel:WORD_1 src1_sel:DWORD
	v_cmp_ne_u32_e32 vcc, v10, v3
	v_fma_f16 v6, v44, v8, -v6
	v_cndmask_b32_e64 v3, 0, 1, vcc
	v_add_u32_e32 v10, 0xfffffc10, v4
	v_cvt_f32_f16_e32 v6, v6
	v_or_b32_e32 v3, v11, v3
	v_lshl_or_b32 v4, v10, 12, v9
	v_cmp_gt_i32_e32 vcc, 1, v10
	v_cndmask_b32_e32 v3, v4, v3, vcc
	v_and_b32_e32 v4, 7, v3
	v_cmp_lt_i32_e32 vcc, 5, v4
	v_cmp_eq_u32_e64 s[0:1], 3, v4
	v_lshrrev_b32_e32 v8, 2, v3
	v_cvt_f64_f32_e32 v[3:4], v6
	s_or_b64 vcc, s[0:1], vcc
	v_addc_co_u32_e32 v6, vcc, 0, v8, vcc
	v_mul_f64 v[3:4], v[3:4], s[2:3]
	v_cmp_gt_i32_e32 vcc, 31, v10
	v_cndmask_b32_e32 v6, v0, v6, vcc
	v_cmp_ne_u32_e32 vcc, 0, v9
	v_cndmask_b32_e64 v8, 0, 1, vcc
	v_lshl_or_b32 v8, v8, 9, v0
	v_cmp_eq_u32_e32 vcc, s10, v10
	v_cndmask_b32_e32 v6, v6, v8, vcc
	v_and_or_b32 v3, v4, s4, v3
	v_lshrrev_b32_e32 v5, 16, v5
	v_cmp_ne_u32_e32 vcc, 0, v3
	v_and_or_b32 v8, v5, s11, v6
	v_cndmask_b32_e64 v3, 0, 1, vcc
	v_lshrrev_b32_e32 v5, 8, v4
	v_bfe_u32 v6, v4, 20, 11
	v_and_or_b32 v3, v5, s5, v3
	v_sub_u32_e32 v9, 0x3f1, v6
	v_or_b32_e32 v5, 0x1000, v3
	v_med3_i32 v9, v9, 0, 13
	v_lshrrev_b32_e32 v10, v9, v5
	v_lshlrev_b32_e32 v9, v9, v10
	v_cmp_ne_u32_e32 vcc, v9, v5
	v_cndmask_b32_e64 v5, 0, 1, vcc
	v_add_u32_e32 v6, 0xfffffc10, v6
	v_or_b32_e32 v5, v10, v5
	v_lshl_or_b32 v9, v6, 12, v3
	v_cmp_gt_i32_e32 vcc, 1, v6
	v_cndmask_b32_e32 v5, v9, v5, vcc
	v_and_b32_e32 v9, 7, v5
	v_cmp_lt_i32_e32 vcc, 5, v9
	v_cmp_eq_u32_e64 s[0:1], 3, v9
	v_lshrrev_b32_e32 v9, 16, v7
	v_lshrrev_b32_e32 v5, 2, v5
	s_or_b64 vcc, s[0:1], vcc
	v_mul_f16_sdwa v10, v43, v9 dst_sel:DWORD dst_unused:UNUSED_PAD src0_sel:WORD_1 src1_sel:DWORD
	v_addc_co_u32_e32 v5, vcc, 0, v5, vcc
	v_fma_f16 v10, v43, v7, v10
	v_cmp_gt_i32_e32 vcc, 31, v6
	v_cvt_f32_f16_e32 v10, v10
	v_cndmask_b32_e32 v5, v0, v5, vcc
	v_cmp_ne_u32_e32 vcc, 0, v3
	v_cndmask_b32_e64 v3, 0, 1, vcc
	v_lshl_or_b32 v3, v3, 9, v0
	v_cmp_eq_u32_e32 vcc, s10, v6
	v_cndmask_b32_e32 v3, v5, v3, vcc
	v_cvt_f64_f32_e32 v[5:6], v10
	v_lshrrev_b32_e32 v4, 16, v4
	v_and_or_b32 v10, v4, s11, v3
	v_add_co_u32_e32 v1, vcc, s7, v1
	v_mul_f64 v[3:4], v[5:6], s[2:3]
	v_mov_b32_e32 v6, s6
	v_and_b32_e32 v8, 0xffff, v8
	v_addc_co_u32_e32 v2, vcc, v2, v6, vcc
	v_lshl_or_b32 v5, v10, 16, v8
	global_store_dword v[1:2], v5, off
	v_mul_f16_sdwa v7, v43, v7 dst_sel:DWORD dst_unused:UNUSED_PAD src0_sel:WORD_1 src1_sel:DWORD
	v_and_or_b32 v3, v4, s4, v3
	v_cmp_ne_u32_e32 vcc, 0, v3
	v_cndmask_b32_e64 v3, 0, 1, vcc
	v_lshrrev_b32_e32 v5, 8, v4
	v_bfe_u32 v6, v4, 20, 11
	v_and_or_b32 v3, v5, s5, v3
	v_sub_u32_e32 v8, 0x3f1, v6
	v_or_b32_e32 v5, 0x1000, v3
	v_med3_i32 v8, v8, 0, 13
	v_lshrrev_b32_e32 v10, v8, v5
	v_lshlrev_b32_e32 v8, v8, v10
	v_cmp_ne_u32_e32 vcc, v8, v5
	v_fma_f16 v7, v43, v9, -v7
	v_cndmask_b32_e64 v5, 0, 1, vcc
	v_add_u32_e32 v8, 0xfffffc10, v6
	v_cvt_f32_f16_e32 v7, v7
	v_or_b32_e32 v5, v10, v5
	v_lshl_or_b32 v6, v8, 12, v3
	v_cmp_gt_i32_e32 vcc, 1, v8
	v_cndmask_b32_e32 v5, v6, v5, vcc
	v_and_b32_e32 v6, 7, v5
	v_cmp_lt_i32_e32 vcc, 5, v6
	v_cmp_eq_u32_e64 s[0:1], 3, v6
	v_lshrrev_b32_e32 v9, 2, v5
	v_cvt_f64_f32_e32 v[5:6], v7
	s_or_b64 vcc, s[0:1], vcc
	v_addc_co_u32_e32 v7, vcc, 0, v9, vcc
	v_mul_f64 v[5:6], v[5:6], s[2:3]
	v_cmp_gt_i32_e32 vcc, 31, v8
	v_cndmask_b32_e32 v7, v0, v7, vcc
	v_cmp_ne_u32_e32 vcc, 0, v3
	v_cndmask_b32_e64 v3, 0, 1, vcc
	v_lshl_or_b32 v3, v3, 9, v0
	v_cmp_eq_u32_e32 vcc, s10, v8
	v_cndmask_b32_e32 v3, v7, v3, vcc
	v_lshrrev_b32_e32 v4, 16, v4
	v_and_or_b32 v9, v4, s11, v3
	v_and_or_b32 v3, v6, s4, v5
	v_cmp_ne_u32_e32 vcc, 0, v3
	v_cndmask_b32_e64 v3, 0, 1, vcc
	v_lshrrev_b32_e32 v4, 8, v6
	v_and_or_b32 v5, v4, s5, v3
	v_bfe_u32 v4, v6, 20, 11
	v_sub_u32_e32 v7, 0x3f1, v4
	v_or_b32_e32 v3, 0x1000, v5
	v_med3_i32 v7, v7, 0, 13
	v_lshrrev_b32_e32 v8, v7, v3
	v_lshlrev_b32_e32 v7, v7, v8
	v_cmp_ne_u32_e32 vcc, v7, v3
	v_cndmask_b32_e64 v3, 0, 1, vcc
	v_add_u32_e32 v7, 0xfffffc10, v4
	v_or_b32_e32 v3, v8, v3
	v_lshl_or_b32 v4, v7, 12, v5
	v_cmp_gt_i32_e32 vcc, 1, v7
	v_cndmask_b32_e32 v3, v4, v3, vcc
	v_and_b32_e32 v4, 7, v3
	v_cmp_lt_i32_e32 vcc, 5, v4
	v_cmp_eq_u32_e64 s[0:1], 3, v4
	v_lshrrev_b32_e32 v3, 2, v3
	s_or_b64 vcc, s[0:1], vcc
	v_addc_co_u32_e32 v8, vcc, 0, v3, vcc
	v_add_u32_e32 v3, 0x900, v35
	ds_read2_b32 v[3:4], v3 offset0:40 offset1:194
	v_cmp_gt_i32_e32 vcc, 31, v7
	v_cndmask_b32_e32 v8, v0, v8, vcc
	v_cmp_ne_u32_e32 vcc, 0, v5
	v_cndmask_b32_e64 v5, 0, 1, vcc
	s_waitcnt lgkmcnt(0)
	v_lshrrev_b32_e32 v10, 16, v3
	v_mul_f16_sdwa v11, v42, v10 dst_sel:DWORD dst_unused:UNUSED_PAD src0_sel:WORD_1 src1_sel:DWORD
	v_fma_f16 v11, v42, v3, v11
	v_cvt_f32_f16_e32 v11, v11
	v_lshl_or_b32 v5, v5, 9, v0
	v_cmp_eq_u32_e32 vcc, s10, v7
	v_cndmask_b32_e32 v5, v8, v5, vcc
	v_cvt_f64_f32_e32 v[7:8], v11
	v_lshrrev_b32_e32 v6, 16, v6
	v_and_or_b32 v11, v6, s11, v5
	v_add_co_u32_e32 v1, vcc, s7, v1
	v_mul_f64 v[5:6], v[7:8], s[2:3]
	v_mov_b32_e32 v8, s6
	v_and_b32_e32 v9, 0xffff, v9
	v_addc_co_u32_e32 v2, vcc, v2, v8, vcc
	v_lshl_or_b32 v7, v11, 16, v9
	global_store_dword v[1:2], v7, off
	v_mul_f16_sdwa v3, v42, v3 dst_sel:DWORD dst_unused:UNUSED_PAD src0_sel:WORD_1 src1_sel:DWORD
	v_and_or_b32 v5, v6, s4, v5
	v_cmp_ne_u32_e32 vcc, 0, v5
	v_cndmask_b32_e64 v5, 0, 1, vcc
	v_lshrrev_b32_e32 v7, 8, v6
	v_bfe_u32 v8, v6, 20, 11
	v_and_or_b32 v5, v7, s5, v5
	v_sub_u32_e32 v9, 0x3f1, v8
	v_or_b32_e32 v7, 0x1000, v5
	v_med3_i32 v9, v9, 0, 13
	v_lshrrev_b32_e32 v11, v9, v7
	v_lshlrev_b32_e32 v9, v9, v11
	v_cmp_ne_u32_e32 vcc, v9, v7
	v_fma_f16 v3, v42, v10, -v3
	v_cndmask_b32_e64 v7, 0, 1, vcc
	v_add_u32_e32 v9, 0xfffffc10, v8
	v_cvt_f32_f16_e32 v3, v3
	v_or_b32_e32 v7, v11, v7
	v_lshl_or_b32 v8, v9, 12, v5
	v_cmp_gt_i32_e32 vcc, 1, v9
	v_cndmask_b32_e32 v7, v8, v7, vcc
	v_and_b32_e32 v8, 7, v7
	v_cmp_lt_i32_e32 vcc, 5, v8
	v_cmp_eq_u32_e64 s[0:1], 3, v8
	v_lshrrev_b32_e32 v10, 2, v7
	v_cvt_f64_f32_e32 v[7:8], v3
	s_or_b64 vcc, s[0:1], vcc
	v_addc_co_u32_e32 v3, vcc, 0, v10, vcc
	v_mul_f64 v[7:8], v[7:8], s[2:3]
	v_cmp_gt_i32_e32 vcc, 31, v9
	v_cndmask_b32_e32 v3, v0, v3, vcc
	v_cmp_ne_u32_e32 vcc, 0, v5
	v_cndmask_b32_e64 v5, 0, 1, vcc
	v_lshl_or_b32 v5, v5, 9, v0
	v_cmp_eq_u32_e32 vcc, s10, v9
	v_cndmask_b32_e32 v3, v3, v5, vcc
	v_lshrrev_b32_e32 v5, 16, v6
	v_and_or_b32 v3, v5, s11, v3
	v_and_or_b32 v5, v8, s4, v7
	v_cmp_ne_u32_e32 vcc, 0, v5
	v_cndmask_b32_e64 v5, 0, 1, vcc
	v_lshrrev_b32_e32 v6, 8, v8
	v_bfe_u32 v7, v8, 20, 11
	v_and_or_b32 v5, v6, s5, v5
	v_sub_u32_e32 v9, 0x3f1, v7
	v_or_b32_e32 v6, 0x1000, v5
	v_med3_i32 v9, v9, 0, 13
	v_lshrrev_b32_e32 v10, v9, v6
	v_lshlrev_b32_e32 v9, v9, v10
	v_cmp_ne_u32_e32 vcc, v9, v6
	v_cndmask_b32_e64 v6, 0, 1, vcc
	v_add_u32_e32 v7, 0xfffffc10, v7
	v_or_b32_e32 v6, v10, v6
	v_lshl_or_b32 v9, v7, 12, v5
	v_cmp_gt_i32_e32 vcc, 1, v7
	v_cndmask_b32_e32 v6, v9, v6, vcc
	v_and_b32_e32 v9, 7, v6
	v_cmp_lt_i32_e32 vcc, 5, v9
	v_cmp_eq_u32_e64 s[0:1], 3, v9
	v_lshrrev_b32_e32 v9, 16, v4
	v_lshrrev_b32_e32 v6, 2, v6
	s_or_b64 vcc, s[0:1], vcc
	v_mul_f16_sdwa v10, v41, v9 dst_sel:DWORD dst_unused:UNUSED_PAD src0_sel:WORD_1 src1_sel:DWORD
	v_addc_co_u32_e32 v6, vcc, 0, v6, vcc
	v_fma_f16 v10, v41, v4, v10
	v_cmp_gt_i32_e32 vcc, 31, v7
	v_cvt_f32_f16_e32 v10, v10
	v_cndmask_b32_e32 v6, v0, v6, vcc
	v_cmp_ne_u32_e32 vcc, 0, v5
	v_cndmask_b32_e64 v5, 0, 1, vcc
	v_lshl_or_b32 v5, v5, 9, v0
	v_cmp_eq_u32_e32 vcc, s10, v7
	v_cndmask_b32_e32 v7, v6, v5, vcc
	v_cvt_f64_f32_e32 v[5:6], v10
	v_lshrrev_b32_e32 v8, 16, v8
	v_and_or_b32 v7, v8, s11, v7
	v_and_b32_e32 v3, 0xffff, v3
	v_mul_f64 v[5:6], v[5:6], s[2:3]
	v_lshl_or_b32 v3, v7, 16, v3
	v_mov_b32_e32 v7, s6
	v_add_co_u32_e32 v1, vcc, s7, v1
	v_addc_co_u32_e32 v2, vcc, v2, v7, vcc
	global_store_dword v[1:2], v3, off
	v_and_or_b32 v3, v6, s4, v5
	v_cmp_ne_u32_e32 vcc, 0, v3
	v_cndmask_b32_e64 v3, 0, 1, vcc
	v_lshrrev_b32_e32 v5, 8, v6
	v_bfe_u32 v7, v6, 20, 11
	v_and_or_b32 v5, v5, s5, v3
	v_sub_u32_e32 v8, 0x3f1, v7
	v_or_b32_e32 v3, 0x1000, v5
	v_med3_i32 v8, v8, 0, 13
	v_lshrrev_b32_e32 v10, v8, v3
	v_lshlrev_b32_e32 v8, v8, v10
	v_mul_f16_sdwa v4, v41, v4 dst_sel:DWORD dst_unused:UNUSED_PAD src0_sel:WORD_1 src1_sel:DWORD
	v_cmp_ne_u32_e32 vcc, v8, v3
	v_fma_f16 v4, v41, v9, -v4
	v_cndmask_b32_e64 v3, 0, 1, vcc
	v_add_u32_e32 v7, 0xfffffc10, v7
	v_cvt_f32_f16_e32 v4, v4
	v_or_b32_e32 v3, v10, v3
	v_lshl_or_b32 v8, v7, 12, v5
	v_cmp_gt_i32_e32 vcc, 1, v7
	v_cndmask_b32_e32 v3, v8, v3, vcc
	v_and_b32_e32 v8, 7, v3
	v_cmp_lt_i32_e32 vcc, 5, v8
	v_cmp_eq_u32_e64 s[0:1], 3, v8
	v_lshrrev_b32_e32 v8, 2, v3
	v_cvt_f64_f32_e32 v[3:4], v4
	s_or_b64 vcc, s[0:1], vcc
	v_addc_co_u32_e32 v8, vcc, 0, v8, vcc
	v_mul_f64 v[3:4], v[3:4], s[2:3]
	v_cmp_gt_i32_e32 vcc, 31, v7
	v_cndmask_b32_e32 v8, v0, v8, vcc
	v_cmp_ne_u32_e32 vcc, 0, v5
	v_cndmask_b32_e64 v5, 0, 1, vcc
	v_lshl_or_b32 v5, v5, 9, v0
	v_cmp_eq_u32_e32 vcc, s10, v7
	v_cndmask_b32_e32 v5, v8, v5, vcc
	v_and_or_b32 v3, v4, s4, v3
	v_lshrrev_b32_e32 v6, 16, v6
	v_cmp_ne_u32_e32 vcc, 0, v3
	v_and_or_b32 v9, v6, s11, v5
	v_cndmask_b32_e64 v3, 0, 1, vcc
	v_lshrrev_b32_e32 v5, 8, v4
	v_bfe_u32 v6, v4, 20, 11
	v_and_or_b32 v3, v5, s5, v3
	v_sub_u32_e32 v7, 0x3f1, v6
	v_or_b32_e32 v5, 0x1000, v3
	v_med3_i32 v7, v7, 0, 13
	v_lshrrev_b32_e32 v8, v7, v5
	v_lshlrev_b32_e32 v7, v7, v8
	v_cmp_ne_u32_e32 vcc, v7, v5
	v_cndmask_b32_e64 v5, 0, 1, vcc
	v_add_u32_e32 v7, 0xfffffc10, v6
	v_or_b32_e32 v5, v8, v5
	v_lshl_or_b32 v6, v7, 12, v3
	v_cmp_gt_i32_e32 vcc, 1, v7
	v_cndmask_b32_e32 v5, v6, v5, vcc
	v_and_b32_e32 v6, 7, v5
	v_cmp_lt_i32_e32 vcc, 5, v6
	v_cmp_eq_u32_e64 s[0:1], 3, v6
	v_lshrrev_b32_e32 v5, 2, v5
	s_or_b64 vcc, s[0:1], vcc
	v_addc_co_u32_e32 v8, vcc, 0, v5, vcc
	v_add_u32_e32 v5, 0xe00, v35
	ds_read2_b32 v[5:6], v5 offset0:28 offset1:182
	v_cmp_gt_i32_e32 vcc, 31, v7
	v_cndmask_b32_e32 v8, v0, v8, vcc
	v_cmp_ne_u32_e32 vcc, 0, v3
	v_cndmask_b32_e64 v3, 0, 1, vcc
	s_waitcnt lgkmcnt(0)
	v_lshrrev_b32_e32 v10, 16, v5
	v_mul_f16_sdwa v11, v40, v10 dst_sel:DWORD dst_unused:UNUSED_PAD src0_sel:WORD_1 src1_sel:DWORD
	v_fma_f16 v11, v40, v5, v11
	v_cvt_f32_f16_e32 v11, v11
	v_lshl_or_b32 v3, v3, 9, v0
	v_cmp_eq_u32_e32 vcc, s10, v7
	v_cndmask_b32_e32 v3, v8, v3, vcc
	v_cvt_f64_f32_e32 v[7:8], v11
	v_lshrrev_b32_e32 v4, 16, v4
	v_and_or_b32 v11, v4, s11, v3
	v_add_co_u32_e32 v1, vcc, s7, v1
	v_mul_f64 v[3:4], v[7:8], s[2:3]
	v_mov_b32_e32 v8, s6
	v_and_b32_e32 v9, 0xffff, v9
	v_addc_co_u32_e32 v2, vcc, v2, v8, vcc
	v_lshl_or_b32 v7, v11, 16, v9
	global_store_dword v[1:2], v7, off
	v_mul_f16_sdwa v5, v40, v5 dst_sel:DWORD dst_unused:UNUSED_PAD src0_sel:WORD_1 src1_sel:DWORD
	v_and_or_b32 v3, v4, s4, v3
	v_cmp_ne_u32_e32 vcc, 0, v3
	v_cndmask_b32_e64 v3, 0, 1, vcc
	v_lshrrev_b32_e32 v7, 8, v4
	v_bfe_u32 v8, v4, 20, 11
	v_and_or_b32 v3, v7, s5, v3
	v_sub_u32_e32 v9, 0x3f1, v8
	v_or_b32_e32 v7, 0x1000, v3
	v_med3_i32 v9, v9, 0, 13
	v_lshrrev_b32_e32 v11, v9, v7
	v_lshlrev_b32_e32 v9, v9, v11
	v_cmp_ne_u32_e32 vcc, v9, v7
	v_fma_f16 v5, v40, v10, -v5
	v_cndmask_b32_e64 v7, 0, 1, vcc
	v_add_u32_e32 v9, 0xfffffc10, v8
	v_cvt_f32_f16_e32 v5, v5
	v_or_b32_e32 v7, v11, v7
	v_lshl_or_b32 v8, v9, 12, v3
	v_cmp_gt_i32_e32 vcc, 1, v9
	v_cndmask_b32_e32 v7, v8, v7, vcc
	v_and_b32_e32 v8, 7, v7
	v_cmp_lt_i32_e32 vcc, 5, v8
	v_cmp_eq_u32_e64 s[0:1], 3, v8
	v_lshrrev_b32_e32 v10, 2, v7
	v_cvt_f64_f32_e32 v[7:8], v5
	s_or_b64 vcc, s[0:1], vcc
	v_addc_co_u32_e32 v5, vcc, 0, v10, vcc
	v_mul_f64 v[7:8], v[7:8], s[2:3]
	v_cmp_gt_i32_e32 vcc, 31, v9
	v_cndmask_b32_e32 v5, v0, v5, vcc
	v_cmp_ne_u32_e32 vcc, 0, v3
	v_cndmask_b32_e64 v3, 0, 1, vcc
	v_lshl_or_b32 v3, v3, 9, v0
	v_cmp_eq_u32_e32 vcc, s10, v9
	v_cndmask_b32_e32 v3, v5, v3, vcc
	v_lshrrev_b32_e32 v4, 16, v4
	v_and_or_b32 v5, v4, s11, v3
	v_and_or_b32 v3, v8, s4, v7
	v_cmp_ne_u32_e32 vcc, 0, v3
	v_cndmask_b32_e64 v3, 0, 1, vcc
	v_lshrrev_b32_e32 v4, 8, v8
	v_bfe_u32 v7, v8, 20, 11
	v_and_or_b32 v3, v4, s5, v3
	v_sub_u32_e32 v9, 0x3f1, v7
	v_or_b32_e32 v4, 0x1000, v3
	v_med3_i32 v9, v9, 0, 13
	v_lshrrev_b32_e32 v10, v9, v4
	v_lshlrev_b32_e32 v9, v9, v10
	v_cmp_ne_u32_e32 vcc, v9, v4
	v_cndmask_b32_e64 v4, 0, 1, vcc
	v_add_u32_e32 v7, 0xfffffc10, v7
	v_or_b32_e32 v4, v10, v4
	v_lshl_or_b32 v9, v7, 12, v3
	v_cmp_gt_i32_e32 vcc, 1, v7
	v_cndmask_b32_e32 v4, v9, v4, vcc
	v_and_b32_e32 v9, 7, v4
	v_cmp_lt_i32_e32 vcc, 5, v9
	v_cmp_eq_u32_e64 s[0:1], 3, v9
	v_lshrrev_b32_e32 v9, 16, v6
	v_lshrrev_b32_e32 v4, 2, v4
	s_or_b64 vcc, s[0:1], vcc
	v_mul_f16_sdwa v10, v39, v9 dst_sel:DWORD dst_unused:UNUSED_PAD src0_sel:WORD_1 src1_sel:DWORD
	v_addc_co_u32_e32 v4, vcc, 0, v4, vcc
	v_fma_f16 v10, v39, v6, v10
	v_cmp_gt_i32_e32 vcc, 31, v7
	v_cvt_f32_f16_e32 v10, v10
	v_cndmask_b32_e32 v4, v0, v4, vcc
	v_cmp_ne_u32_e32 vcc, 0, v3
	v_cndmask_b32_e64 v3, 0, 1, vcc
	v_lshl_or_b32 v3, v3, 9, v0
	v_cmp_eq_u32_e32 vcc, s10, v7
	v_cndmask_b32_e32 v7, v4, v3, vcc
	v_cvt_f64_f32_e32 v[3:4], v10
	v_lshrrev_b32_e32 v8, 16, v8
	v_and_or_b32 v7, v8, s11, v7
	v_and_b32_e32 v5, 0xffff, v5
	v_mul_f64 v[3:4], v[3:4], s[2:3]
	v_lshl_or_b32 v5, v7, 16, v5
	v_mov_b32_e32 v7, s6
	v_add_co_u32_e32 v1, vcc, s7, v1
	v_addc_co_u32_e32 v2, vcc, v2, v7, vcc
	global_store_dword v[1:2], v5, off
	v_and_or_b32 v3, v4, s4, v3
	v_cmp_ne_u32_e32 vcc, 0, v3
	v_cndmask_b32_e64 v3, 0, 1, vcc
	v_lshrrev_b32_e32 v5, 8, v4
	v_bfe_u32 v7, v4, 20, 11
	v_and_or_b32 v3, v5, s5, v3
	v_sub_u32_e32 v8, 0x3f1, v7
	v_or_b32_e32 v5, 0x1000, v3
	v_med3_i32 v8, v8, 0, 13
	v_lshrrev_b32_e32 v10, v8, v5
	v_lshlrev_b32_e32 v8, v8, v10
	v_mul_f16_sdwa v6, v39, v6 dst_sel:DWORD dst_unused:UNUSED_PAD src0_sel:WORD_1 src1_sel:DWORD
	v_cmp_ne_u32_e32 vcc, v8, v5
	v_fma_f16 v6, v39, v9, -v6
	v_cndmask_b32_e64 v5, 0, 1, vcc
	v_add_u32_e32 v7, 0xfffffc10, v7
	v_cvt_f32_f16_e32 v6, v6
	v_or_b32_e32 v5, v10, v5
	v_lshl_or_b32 v8, v7, 12, v3
	v_cmp_gt_i32_e32 vcc, 1, v7
	v_cndmask_b32_e32 v5, v8, v5, vcc
	v_and_b32_e32 v8, 7, v5
	v_cmp_lt_i32_e32 vcc, 5, v8
	v_cmp_eq_u32_e64 s[0:1], 3, v8
	v_lshrrev_b32_e32 v8, 2, v5
	v_cvt_f64_f32_e32 v[5:6], v6
	s_or_b64 vcc, s[0:1], vcc
	v_addc_co_u32_e32 v8, vcc, 0, v8, vcc
	v_mul_f64 v[5:6], v[5:6], s[2:3]
	v_cmp_gt_i32_e32 vcc, 31, v7
	v_cndmask_b32_e32 v8, v0, v8, vcc
	v_cmp_ne_u32_e32 vcc, 0, v3
	v_cndmask_b32_e64 v3, 0, 1, vcc
	v_lshl_or_b32 v3, v3, 9, v0
	v_cmp_eq_u32_e32 vcc, s10, v7
	v_cndmask_b32_e32 v3, v8, v3, vcc
	v_lshrrev_b32_e32 v4, 16, v4
	v_and_or_b32 v9, v4, s11, v3
	v_and_or_b32 v3, v6, s4, v5
	v_cmp_ne_u32_e32 vcc, 0, v3
	v_cndmask_b32_e64 v3, 0, 1, vcc
	v_lshrrev_b32_e32 v4, 8, v6
	v_and_or_b32 v5, v4, s5, v3
	v_bfe_u32 v4, v6, 20, 11
	v_sub_u32_e32 v7, 0x3f1, v4
	v_or_b32_e32 v3, 0x1000, v5
	v_med3_i32 v7, v7, 0, 13
	v_lshrrev_b32_e32 v8, v7, v3
	v_lshlrev_b32_e32 v7, v7, v8
	v_cmp_ne_u32_e32 vcc, v7, v3
	v_cndmask_b32_e64 v3, 0, 1, vcc
	v_add_u32_e32 v7, 0xfffffc10, v4
	v_or_b32_e32 v3, v8, v3
	v_lshl_or_b32 v4, v7, 12, v5
	v_cmp_gt_i32_e32 vcc, 1, v7
	v_cndmask_b32_e32 v3, v4, v3, vcc
	v_and_b32_e32 v4, 7, v3
	v_cmp_lt_i32_e32 vcc, 5, v4
	v_cmp_eq_u32_e64 s[0:1], 3, v4
	v_lshrrev_b32_e32 v3, 2, v3
	s_or_b64 vcc, s[0:1], vcc
	v_addc_co_u32_e32 v8, vcc, 0, v3, vcc
	v_add_u32_e32 v3, 0x1200, v35
	ds_read2_b32 v[3:4], v3 offset0:80 offset1:234
	v_cmp_gt_i32_e32 vcc, 31, v7
	v_cndmask_b32_e32 v8, v0, v8, vcc
	v_cmp_ne_u32_e32 vcc, 0, v5
	v_cndmask_b32_e64 v5, 0, 1, vcc
	s_waitcnt lgkmcnt(0)
	v_lshrrev_b32_e32 v10, 16, v3
	v_mul_f16_sdwa v11, v38, v10 dst_sel:DWORD dst_unused:UNUSED_PAD src0_sel:WORD_1 src1_sel:DWORD
	v_fma_f16 v11, v38, v3, v11
	v_cvt_f32_f16_e32 v11, v11
	v_lshl_or_b32 v5, v5, 9, v0
	v_cmp_eq_u32_e32 vcc, s10, v7
	v_cndmask_b32_e32 v5, v8, v5, vcc
	v_cvt_f64_f32_e32 v[7:8], v11
	v_lshrrev_b32_e32 v6, 16, v6
	v_and_or_b32 v11, v6, s11, v5
	v_add_co_u32_e32 v1, vcc, s7, v1
	v_mul_f64 v[5:6], v[7:8], s[2:3]
	v_mov_b32_e32 v8, s6
	v_and_b32_e32 v9, 0xffff, v9
	v_addc_co_u32_e32 v2, vcc, v2, v8, vcc
	v_lshl_or_b32 v7, v11, 16, v9
	global_store_dword v[1:2], v7, off
	v_mul_f16_sdwa v3, v38, v3 dst_sel:DWORD dst_unused:UNUSED_PAD src0_sel:WORD_1 src1_sel:DWORD
	v_and_or_b32 v5, v6, s4, v5
	v_cmp_ne_u32_e32 vcc, 0, v5
	v_cndmask_b32_e64 v5, 0, 1, vcc
	v_lshrrev_b32_e32 v7, 8, v6
	v_bfe_u32 v8, v6, 20, 11
	v_and_or_b32 v5, v7, s5, v5
	v_sub_u32_e32 v9, 0x3f1, v8
	v_or_b32_e32 v7, 0x1000, v5
	v_med3_i32 v9, v9, 0, 13
	v_lshrrev_b32_e32 v11, v9, v7
	v_lshlrev_b32_e32 v9, v9, v11
	v_cmp_ne_u32_e32 vcc, v9, v7
	v_fma_f16 v3, v38, v10, -v3
	v_cndmask_b32_e64 v7, 0, 1, vcc
	v_add_u32_e32 v9, 0xfffffc10, v8
	v_cvt_f32_f16_e32 v3, v3
	v_or_b32_e32 v7, v11, v7
	v_lshl_or_b32 v8, v9, 12, v5
	v_cmp_gt_i32_e32 vcc, 1, v9
	v_cndmask_b32_e32 v7, v8, v7, vcc
	v_and_b32_e32 v8, 7, v7
	v_cmp_lt_i32_e32 vcc, 5, v8
	v_cmp_eq_u32_e64 s[0:1], 3, v8
	v_lshrrev_b32_e32 v10, 2, v7
	v_cvt_f64_f32_e32 v[7:8], v3
	s_or_b64 vcc, s[0:1], vcc
	v_addc_co_u32_e32 v3, vcc, 0, v10, vcc
	v_mul_f64 v[7:8], v[7:8], s[2:3]
	v_cmp_gt_i32_e32 vcc, 31, v9
	v_cndmask_b32_e32 v3, v0, v3, vcc
	v_cmp_ne_u32_e32 vcc, 0, v5
	v_cndmask_b32_e64 v5, 0, 1, vcc
	v_lshl_or_b32 v5, v5, 9, v0
	v_cmp_eq_u32_e32 vcc, s10, v9
	v_cndmask_b32_e32 v3, v3, v5, vcc
	v_lshrrev_b32_e32 v5, 16, v6
	v_and_or_b32 v3, v5, s11, v3
	v_and_or_b32 v5, v8, s4, v7
	v_cmp_ne_u32_e32 vcc, 0, v5
	v_cndmask_b32_e64 v5, 0, 1, vcc
	v_lshrrev_b32_e32 v6, 8, v8
	v_bfe_u32 v7, v8, 20, 11
	v_and_or_b32 v5, v6, s5, v5
	v_sub_u32_e32 v9, 0x3f1, v7
	v_or_b32_e32 v6, 0x1000, v5
	v_med3_i32 v9, v9, 0, 13
	v_lshrrev_b32_e32 v10, v9, v6
	v_lshlrev_b32_e32 v9, v9, v10
	v_cmp_ne_u32_e32 vcc, v9, v6
	v_cndmask_b32_e64 v6, 0, 1, vcc
	v_add_u32_e32 v7, 0xfffffc10, v7
	v_or_b32_e32 v6, v10, v6
	v_lshl_or_b32 v9, v7, 12, v5
	v_cmp_gt_i32_e32 vcc, 1, v7
	v_cndmask_b32_e32 v6, v9, v6, vcc
	v_and_b32_e32 v9, 7, v6
	v_cmp_lt_i32_e32 vcc, 5, v9
	v_cmp_eq_u32_e64 s[0:1], 3, v9
	v_lshrrev_b32_e32 v9, 16, v4
	v_lshrrev_b32_e32 v6, 2, v6
	s_or_b64 vcc, s[0:1], vcc
	v_mul_f16_sdwa v10, v37, v9 dst_sel:DWORD dst_unused:UNUSED_PAD src0_sel:WORD_1 src1_sel:DWORD
	v_addc_co_u32_e32 v6, vcc, 0, v6, vcc
	v_fma_f16 v10, v37, v4, v10
	v_cmp_gt_i32_e32 vcc, 31, v7
	v_cvt_f32_f16_e32 v10, v10
	v_cndmask_b32_e32 v6, v0, v6, vcc
	v_cmp_ne_u32_e32 vcc, 0, v5
	v_cndmask_b32_e64 v5, 0, 1, vcc
	v_lshl_or_b32 v5, v5, 9, v0
	v_cmp_eq_u32_e32 vcc, s10, v7
	v_cndmask_b32_e32 v7, v6, v5, vcc
	v_cvt_f64_f32_e32 v[5:6], v10
	v_lshrrev_b32_e32 v8, 16, v8
	v_and_or_b32 v7, v8, s11, v7
	v_and_b32_e32 v3, 0xffff, v3
	v_mul_f64 v[5:6], v[5:6], s[2:3]
	v_lshl_or_b32 v3, v7, 16, v3
	v_mov_b32_e32 v7, s6
	v_add_co_u32_e32 v1, vcc, s7, v1
	v_addc_co_u32_e32 v2, vcc, v2, v7, vcc
	global_store_dword v[1:2], v3, off
	v_and_or_b32 v3, v6, s4, v5
	v_cmp_ne_u32_e32 vcc, 0, v3
	v_cndmask_b32_e64 v3, 0, 1, vcc
	v_lshrrev_b32_e32 v5, 8, v6
	v_bfe_u32 v7, v6, 20, 11
	v_and_or_b32 v5, v5, s5, v3
	v_sub_u32_e32 v8, 0x3f1, v7
	v_or_b32_e32 v3, 0x1000, v5
	v_med3_i32 v8, v8, 0, 13
	v_lshrrev_b32_e32 v10, v8, v3
	v_lshlrev_b32_e32 v8, v8, v10
	v_mul_f16_sdwa v4, v37, v4 dst_sel:DWORD dst_unused:UNUSED_PAD src0_sel:WORD_1 src1_sel:DWORD
	v_cmp_ne_u32_e32 vcc, v8, v3
	v_fma_f16 v4, v37, v9, -v4
	v_cndmask_b32_e64 v3, 0, 1, vcc
	v_add_u32_e32 v7, 0xfffffc10, v7
	v_cvt_f32_f16_e32 v4, v4
	v_or_b32_e32 v3, v10, v3
	v_lshl_or_b32 v8, v7, 12, v5
	v_cmp_gt_i32_e32 vcc, 1, v7
	v_cndmask_b32_e32 v3, v8, v3, vcc
	v_and_b32_e32 v8, 7, v3
	v_cmp_lt_i32_e32 vcc, 5, v8
	v_cmp_eq_u32_e64 s[0:1], 3, v8
	v_lshrrev_b32_e32 v8, 2, v3
	v_cvt_f64_f32_e32 v[3:4], v4
	s_or_b64 vcc, s[0:1], vcc
	v_addc_co_u32_e32 v8, vcc, 0, v8, vcc
	v_mul_f64 v[3:4], v[3:4], s[2:3]
	v_cmp_gt_i32_e32 vcc, 31, v7
	v_cndmask_b32_e32 v8, v0, v8, vcc
	v_cmp_ne_u32_e32 vcc, 0, v5
	v_cndmask_b32_e64 v5, 0, 1, vcc
	v_lshl_or_b32 v5, v5, 9, v0
	v_cmp_eq_u32_e32 vcc, s10, v7
	v_cndmask_b32_e32 v5, v8, v5, vcc
	v_and_or_b32 v3, v4, s4, v3
	v_lshrrev_b32_e32 v6, 16, v6
	v_cmp_ne_u32_e32 vcc, 0, v3
	v_and_or_b32 v7, v6, s11, v5
	v_cndmask_b32_e64 v3, 0, 1, vcc
	v_lshrrev_b32_e32 v5, 8, v4
	v_bfe_u32 v6, v4, 20, 11
	v_and_or_b32 v3, v5, s5, v3
	v_sub_u32_e32 v8, 0x3f1, v6
	v_or_b32_e32 v5, 0x1000, v3
	v_med3_i32 v8, v8, 0, 13
	v_lshrrev_b32_e32 v9, v8, v5
	v_lshlrev_b32_e32 v8, v8, v9
	v_cmp_ne_u32_e32 vcc, v8, v5
	v_cndmask_b32_e64 v5, 0, 1, vcc
	v_add_u32_e32 v6, 0xfffffc10, v6
	v_or_b32_e32 v5, v9, v5
	v_lshl_or_b32 v8, v6, 12, v3
	v_cmp_gt_i32_e32 vcc, 1, v6
	v_cndmask_b32_e32 v5, v8, v5, vcc
	v_and_b32_e32 v8, 7, v5
	v_cmp_lt_i32_e32 vcc, 5, v8
	v_cmp_eq_u32_e64 s[0:1], 3, v8
	ds_read_b32 v8, v35 offset:6160
	v_lshrrev_b32_e32 v5, 2, v5
	s_or_b64 vcc, s[0:1], vcc
	v_addc_co_u32_e32 v5, vcc, 0, v5, vcc
	s_waitcnt lgkmcnt(0)
	v_lshrrev_b32_e32 v9, 16, v8
	v_mul_f16_sdwa v10, v36, v9 dst_sel:DWORD dst_unused:UNUSED_PAD src0_sel:WORD_1 src1_sel:DWORD
	v_fma_f16 v10, v36, v8, v10
	v_cmp_gt_i32_e32 vcc, 31, v6
	v_cvt_f32_f16_e32 v10, v10
	v_cndmask_b32_e32 v5, v0, v5, vcc
	v_cmp_ne_u32_e32 vcc, 0, v3
	v_cndmask_b32_e64 v3, 0, 1, vcc
	v_lshl_or_b32 v3, v3, 9, v0
	v_cmp_eq_u32_e32 vcc, s10, v6
	v_cndmask_b32_e32 v3, v5, v3, vcc
	v_cvt_f64_f32_e32 v[5:6], v10
	v_lshrrev_b32_e32 v4, 16, v4
	v_and_or_b32 v10, v4, s11, v3
	v_add_co_u32_e32 v1, vcc, s7, v1
	v_mul_f64 v[3:4], v[5:6], s[2:3]
	v_mov_b32_e32 v6, s6
	v_and_b32_e32 v7, 0xffff, v7
	v_addc_co_u32_e32 v2, vcc, v2, v6, vcc
	v_lshl_or_b32 v5, v10, 16, v7
	global_store_dword v[1:2], v5, off
	v_mul_f16_sdwa v8, v36, v8 dst_sel:DWORD dst_unused:UNUSED_PAD src0_sel:WORD_1 src1_sel:DWORD
	v_and_or_b32 v3, v4, s4, v3
	v_cmp_ne_u32_e32 vcc, 0, v3
	v_cndmask_b32_e64 v3, 0, 1, vcc
	v_lshrrev_b32_e32 v5, 8, v4
	v_bfe_u32 v6, v4, 20, 11
	v_and_or_b32 v3, v5, s5, v3
	v_sub_u32_e32 v7, 0x3f1, v6
	v_or_b32_e32 v5, 0x1000, v3
	v_med3_i32 v7, v7, 0, 13
	v_lshrrev_b32_e32 v10, v7, v5
	v_lshlrev_b32_e32 v7, v7, v10
	v_cmp_ne_u32_e32 vcc, v7, v5
	v_fma_f16 v8, v36, v9, -v8
	v_cndmask_b32_e64 v5, 0, 1, vcc
	v_add_u32_e32 v7, 0xfffffc10, v6
	v_cvt_f32_f16_e32 v8, v8
	v_or_b32_e32 v5, v10, v5
	v_lshl_or_b32 v6, v7, 12, v3
	v_cmp_gt_i32_e32 vcc, 1, v7
	v_cndmask_b32_e32 v5, v6, v5, vcc
	v_and_b32_e32 v6, 7, v5
	v_cmp_lt_i32_e32 vcc, 5, v6
	v_cmp_eq_u32_e64 s[0:1], 3, v6
	v_lshrrev_b32_e32 v9, 2, v5
	v_cvt_f64_f32_e32 v[5:6], v8
	s_or_b64 vcc, s[0:1], vcc
	v_addc_co_u32_e32 v8, vcc, 0, v9, vcc
	v_mul_f64 v[5:6], v[5:6], s[2:3]
	v_cmp_gt_i32_e32 vcc, 31, v7
	v_cndmask_b32_e32 v8, v0, v8, vcc
	v_cmp_ne_u32_e32 vcc, 0, v3
	v_cndmask_b32_e64 v3, 0, 1, vcc
	v_lshl_or_b32 v3, v3, 9, v0
	v_cmp_eq_u32_e32 vcc, s10, v7
	v_cndmask_b32_e32 v3, v8, v3, vcc
	v_lshrrev_b32_e32 v4, 16, v4
	v_and_or_b32 v3, v4, s11, v3
	v_and_or_b32 v4, v6, s4, v5
	v_cmp_ne_u32_e32 vcc, 0, v4
	v_cndmask_b32_e64 v4, 0, 1, vcc
	v_lshrrev_b32_e32 v5, 8, v6
	v_bfe_u32 v7, v6, 20, 11
	v_and_or_b32 v4, v5, s5, v4
	v_sub_u32_e32 v8, 0x3f1, v7
	v_or_b32_e32 v5, 0x1000, v4
	v_med3_i32 v8, v8, 0, 13
	v_lshrrev_b32_e32 v9, v8, v5
	v_lshlrev_b32_e32 v8, v8, v9
	v_cmp_ne_u32_e32 vcc, v8, v5
	v_cndmask_b32_e64 v5, 0, 1, vcc
	v_add_u32_e32 v7, 0xfffffc10, v7
	v_or_b32_e32 v5, v9, v5
	v_lshl_or_b32 v8, v7, 12, v4
	v_cmp_gt_i32_e32 vcc, 1, v7
	v_cndmask_b32_e32 v5, v8, v5, vcc
	v_and_b32_e32 v8, 7, v5
	v_cmp_lt_i32_e32 vcc, 5, v8
	v_cmp_eq_u32_e64 s[0:1], 3, v8
	v_lshrrev_b32_e32 v5, 2, v5
	s_or_b64 vcc, s[0:1], vcc
	v_addc_co_u32_e32 v5, vcc, 0, v5, vcc
	v_cmp_gt_i32_e32 vcc, 31, v7
	v_cndmask_b32_e32 v5, v0, v5, vcc
	v_cmp_ne_u32_e32 vcc, 0, v4
	v_cndmask_b32_e64 v4, 0, 1, vcc
	v_lshl_or_b32 v0, v4, 9, v0
	v_cmp_eq_u32_e32 vcc, s10, v7
	v_cndmask_b32_e32 v0, v5, v0, vcc
	v_lshrrev_b32_e32 v4, 16, v6
	v_and_or_b32 v0, v4, s11, v0
	v_and_b32_e32 v3, 0xffff, v3
	v_lshl_or_b32 v3, v0, 16, v3
	v_mov_b32_e32 v4, s6
	v_add_co_u32_e32 v0, vcc, s7, v1
	v_addc_co_u32_e32 v1, vcc, v2, v4, vcc
	global_store_dword v[0:1], v3, off
.LBB0_18:
	s_endpgm
	.section	.rodata,"a",@progbits
	.p2align	6, 0x0
	.amdhsa_kernel bluestein_single_back_len1694_dim1_half_op_CI_CI
		.amdhsa_group_segment_fixed_size 6776
		.amdhsa_private_segment_fixed_size 0
		.amdhsa_kernarg_size 104
		.amdhsa_user_sgpr_count 6
		.amdhsa_user_sgpr_private_segment_buffer 1
		.amdhsa_user_sgpr_dispatch_ptr 0
		.amdhsa_user_sgpr_queue_ptr 0
		.amdhsa_user_sgpr_kernarg_segment_ptr 1
		.amdhsa_user_sgpr_dispatch_id 0
		.amdhsa_user_sgpr_flat_scratch_init 0
		.amdhsa_user_sgpr_private_segment_size 0
		.amdhsa_uses_dynamic_stack 0
		.amdhsa_system_sgpr_private_segment_wavefront_offset 0
		.amdhsa_system_sgpr_workgroup_id_x 1
		.amdhsa_system_sgpr_workgroup_id_y 0
		.amdhsa_system_sgpr_workgroup_id_z 0
		.amdhsa_system_sgpr_workgroup_info 0
		.amdhsa_system_vgpr_workitem_id 0
		.amdhsa_next_free_vgpr 105
		.amdhsa_next_free_sgpr 26
		.amdhsa_reserve_vcc 1
		.amdhsa_reserve_flat_scratch 0
		.amdhsa_float_round_mode_32 0
		.amdhsa_float_round_mode_16_64 0
		.amdhsa_float_denorm_mode_32 3
		.amdhsa_float_denorm_mode_16_64 3
		.amdhsa_dx10_clamp 1
		.amdhsa_ieee_mode 1
		.amdhsa_fp16_overflow 0
		.amdhsa_exception_fp_ieee_invalid_op 0
		.amdhsa_exception_fp_denorm_src 0
		.amdhsa_exception_fp_ieee_div_zero 0
		.amdhsa_exception_fp_ieee_overflow 0
		.amdhsa_exception_fp_ieee_underflow 0
		.amdhsa_exception_fp_ieee_inexact 0
		.amdhsa_exception_int_div_zero 0
	.end_amdhsa_kernel
	.text
.Lfunc_end0:
	.size	bluestein_single_back_len1694_dim1_half_op_CI_CI, .Lfunc_end0-bluestein_single_back_len1694_dim1_half_op_CI_CI
                                        ; -- End function
	.section	.AMDGPU.csdata,"",@progbits
; Kernel info:
; codeLenInByte = 22064
; NumSgprs: 30
; NumVgprs: 105
; ScratchSize: 0
; MemoryBound: 0
; FloatMode: 240
; IeeeMode: 1
; LDSByteSize: 6776 bytes/workgroup (compile time only)
; SGPRBlocks: 3
; VGPRBlocks: 26
; NumSGPRsForWavesPerEU: 30
; NumVGPRsForWavesPerEU: 105
; Occupancy: 2
; WaveLimiterHint : 1
; COMPUTE_PGM_RSRC2:SCRATCH_EN: 0
; COMPUTE_PGM_RSRC2:USER_SGPR: 6
; COMPUTE_PGM_RSRC2:TRAP_HANDLER: 0
; COMPUTE_PGM_RSRC2:TGID_X_EN: 1
; COMPUTE_PGM_RSRC2:TGID_Y_EN: 0
; COMPUTE_PGM_RSRC2:TGID_Z_EN: 0
; COMPUTE_PGM_RSRC2:TIDIG_COMP_CNT: 0
	.type	__hip_cuid_4689c21f50d4b6c1,@object ; @__hip_cuid_4689c21f50d4b6c1
	.section	.bss,"aw",@nobits
	.globl	__hip_cuid_4689c21f50d4b6c1
__hip_cuid_4689c21f50d4b6c1:
	.byte	0                               ; 0x0
	.size	__hip_cuid_4689c21f50d4b6c1, 1

	.ident	"AMD clang version 19.0.0git (https://github.com/RadeonOpenCompute/llvm-project roc-6.4.0 25133 c7fe45cf4b819c5991fe208aaa96edf142730f1d)"
	.section	".note.GNU-stack","",@progbits
	.addrsig
	.addrsig_sym __hip_cuid_4689c21f50d4b6c1
	.amdgpu_metadata
---
amdhsa.kernels:
  - .args:
      - .actual_access:  read_only
        .address_space:  global
        .offset:         0
        .size:           8
        .value_kind:     global_buffer
      - .actual_access:  read_only
        .address_space:  global
        .offset:         8
        .size:           8
        .value_kind:     global_buffer
      - .actual_access:  read_only
        .address_space:  global
        .offset:         16
        .size:           8
        .value_kind:     global_buffer
      - .actual_access:  read_only
        .address_space:  global
        .offset:         24
        .size:           8
        .value_kind:     global_buffer
      - .actual_access:  read_only
        .address_space:  global
        .offset:         32
        .size:           8
        .value_kind:     global_buffer
      - .offset:         40
        .size:           8
        .value_kind:     by_value
      - .address_space:  global
        .offset:         48
        .size:           8
        .value_kind:     global_buffer
      - .address_space:  global
        .offset:         56
        .size:           8
        .value_kind:     global_buffer
      - .address_space:  global
        .offset:         64
        .size:           8
        .value_kind:     global_buffer
      - .address_space:  global
        .offset:         72
        .size:           8
        .value_kind:     global_buffer
      - .offset:         80
        .size:           4
        .value_kind:     by_value
      - .address_space:  global
        .offset:         88
        .size:           8
        .value_kind:     global_buffer
      - .address_space:  global
        .offset:         96
        .size:           8
        .value_kind:     global_buffer
    .group_segment_fixed_size: 6776
    .kernarg_segment_align: 8
    .kernarg_segment_size: 104
    .language:       OpenCL C
    .language_version:
      - 2
      - 0
    .max_flat_workgroup_size: 154
    .name:           bluestein_single_back_len1694_dim1_half_op_CI_CI
    .private_segment_fixed_size: 0
    .sgpr_count:     30
    .sgpr_spill_count: 0
    .symbol:         bluestein_single_back_len1694_dim1_half_op_CI_CI.kd
    .uniform_work_group_size: 1
    .uses_dynamic_stack: false
    .vgpr_count:     105
    .vgpr_spill_count: 0
    .wavefront_size: 64
amdhsa.target:   amdgcn-amd-amdhsa--gfx906
amdhsa.version:
  - 1
  - 2
...

	.end_amdgpu_metadata
